;; amdgpu-corpus repo=ROCm/rocFFT kind=compiled arch=gfx1030 opt=O3
	.text
	.amdgcn_target "amdgcn-amd-amdhsa--gfx1030"
	.amdhsa_code_object_version 6
	.protected	fft_rtc_fwd_len17_factors_17_wgs_120_tpt_1_dp_op_CI_CI_sbrc_unaligned_dirReg ; -- Begin function fft_rtc_fwd_len17_factors_17_wgs_120_tpt_1_dp_op_CI_CI_sbrc_unaligned_dirReg
	.globl	fft_rtc_fwd_len17_factors_17_wgs_120_tpt_1_dp_op_CI_CI_sbrc_unaligned_dirReg
	.p2align	8
	.type	fft_rtc_fwd_len17_factors_17_wgs_120_tpt_1_dp_op_CI_CI_sbrc_unaligned_dirReg,@function
fft_rtc_fwd_len17_factors_17_wgs_120_tpt_1_dp_op_CI_CI_sbrc_unaligned_dirReg: ; @fft_rtc_fwd_len17_factors_17_wgs_120_tpt_1_dp_op_CI_CI_sbrc_unaligned_dirReg
; %bb.0:
	s_load_dwordx8 s[8:15], s[4:5], 0x8
	s_mov_b64 s[28:29], 2
	s_waitcnt lgkmcnt(0)
	s_load_dword s33, s[10:11], 0x8
	s_load_dwordx4 s[20:23], s[12:13], 0x0
	s_waitcnt lgkmcnt(0)
	s_add_i32 s0, s33, -1
	s_mul_hi_u32 s0, s0, 0x88888889
	s_lshr_b32 s0, s0, 6
	s_add_i32 s7, s0, 1
	v_cvt_f32_u32_e32 v1, s7
	s_sub_i32 s1, 0, s7
	v_rcp_iflag_f32_e32 v1, v1
	v_mul_f32_e32 v1, 0x4f7ffffe, v1
	v_cvt_u32_f32_e32 v1, v1
	v_readfirstlane_b32 s0, v1
	s_mul_i32 s1, s1, s0
	s_mul_hi_u32 s1, s0, s1
	s_add_i32 s0, s0, s1
	s_mul_hi_u32 s24, s6, s0
	s_load_dwordx4 s[0:3], s[14:15], 0x0
	s_mul_i32 s16, s24, s7
	s_add_i32 s23, s24, 1
	s_waitcnt lgkmcnt(0)
	s_sub_i32 s3, s6, s16
	s_load_dwordx4 s[16:19], s[4:5], 0x58
	s_sub_i32 s25, s3, s7
	s_cmp_ge_u32 s3, s7
	s_cselect_b32 s4, s23, s24
	s_cselect_b32 s3, s25, s3
	s_add_i32 s5, s4, 1
	s_cmp_ge_u32 s3, s7
	s_mov_b32 s24, 0
	s_cselect_b32 s3, s5, s4
	v_cmp_gt_u64_e64 s4, s[8:9], 2
	s_mul_i32 s5, s3, s7
	s_mov_b32 s36, s24
	s_sub_i32 s23, s6, s5
	s_mulk_i32 s23, 0x78
	s_and_b32 vcc_lo, exec_lo, s4
	s_mul_i32 s5, s1, s23
	s_mul_hi_u32 s25, s0, s23
	s_mul_i32 s37, s23, s22
	s_mul_i32 s4, s0, s23
	s_add_i32 s5, s25, s5
	s_cbranch_vccz .LBB0_9
; %bb.1:
	s_mov_b32 s26, 3
.LBB0_2:                                ; =>This Inner Loop Header: Depth=1
	s_lshl_b64 s[30:31], s[28:29], 3
	s_add_u32 s28, s10, s30
	s_addc_u32 s29, s11, s31
	s_load_dwordx2 s[28:29], s[28:29], 0x0
	s_waitcnt lgkmcnt(0)
	s_mov_b32 s25, s29
	s_cmp_lg_u64 s[24:25], 0
	s_cbranch_scc0 .LBB0_7
; %bb.3:                                ;   in Loop: Header=BB0_2 Depth=1
	v_cvt_f32_u32_e32 v1, s28
	v_cvt_f32_u32_e32 v2, s29
	s_sub_u32 s34, 0, s28
	s_subb_u32 s35, 0, s29
	v_fmac_f32_e32 v1, 0x4f800000, v2
	v_rcp_f32_e32 v1, v1
	v_mul_f32_e32 v1, 0x5f7ffffc, v1
	v_mul_f32_e32 v2, 0x2f800000, v1
	v_trunc_f32_e32 v2, v2
	v_fmac_f32_e32 v1, 0xcf800000, v2
	v_cvt_u32_f32_e32 v2, v2
	v_cvt_u32_f32_e32 v1, v1
	v_readfirstlane_b32 s25, v2
	v_readfirstlane_b32 s27, v1
	s_mul_i32 s38, s34, s25
	s_mul_hi_u32 s40, s34, s27
	s_mul_i32 s39, s35, s27
	s_add_i32 s38, s40, s38
	s_mul_i32 s41, s34, s27
	s_add_i32 s38, s38, s39
	s_mul_hi_u32 s40, s27, s41
	s_mul_hi_u32 s42, s25, s41
	s_mul_i32 s39, s25, s41
	s_mul_hi_u32 s41, s27, s38
	s_mul_i32 s27, s27, s38
	s_mul_hi_u32 s43, s25, s38
	s_add_u32 s27, s40, s27
	s_addc_u32 s40, 0, s41
	s_add_u32 s27, s27, s39
	s_mul_i32 s38, s25, s38
	s_addc_u32 s27, s40, s42
	s_addc_u32 s39, s43, 0
	s_add_u32 s27, s27, s38
	s_addc_u32 s38, 0, s39
	v_add_co_u32 v1, s27, v1, s27
	s_cmp_lg_u32 s27, 0
	s_addc_u32 s25, s25, s38
	v_readfirstlane_b32 s27, v1
	s_mul_i32 s38, s34, s25
	s_mul_hi_u32 s39, s34, s27
	s_mul_i32 s35, s35, s27
	s_add_i32 s38, s39, s38
	s_mul_i32 s34, s34, s27
	s_add_i32 s38, s38, s35
	s_mul_hi_u32 s39, s25, s34
	s_mul_i32 s40, s25, s34
	s_mul_hi_u32 s34, s27, s34
	s_mul_hi_u32 s41, s27, s38
	s_mul_i32 s27, s27, s38
	s_mul_hi_u32 s35, s25, s38
	s_add_u32 s27, s34, s27
	s_addc_u32 s34, 0, s41
	s_add_u32 s27, s27, s40
	s_mul_i32 s38, s25, s38
	s_addc_u32 s27, s34, s39
	s_addc_u32 s34, s35, 0
	s_add_u32 s27, s27, s38
	s_addc_u32 s34, 0, s34
	v_add_co_u32 v1, s27, v1, s27
	s_cmp_lg_u32 s27, 0
	s_addc_u32 s25, s25, s34
	v_readfirstlane_b32 s27, v1
	s_mul_i32 s34, s3, s25
	s_mul_hi_u32 s25, s3, s25
	s_mul_hi_u32 s27, s3, s27
	s_add_u32 s27, s27, s34
	s_addc_u32 s27, 0, s25
	s_mul_i32 s25, s29, s27
	s_mul_hi_u32 s34, s28, s27
	s_mul_i32 s35, s28, s27
	s_add_i32 s34, s34, s25
	v_sub_co_u32 v1, s25, s3, s35
	s_sub_i32 s35, 0, s34
	s_cmp_lg_u32 s25, 0
	v_sub_co_u32 v2, s38, v1, s28
	s_subb_u32 s35, s35, s29
	s_cmp_lg_u32 s38, 0
	v_readfirstlane_b32 s38, v2
	s_subb_u32 s35, s35, 0
	s_cmp_ge_u32 s35, s29
	s_cselect_b32 s39, -1, 0
	s_cmp_ge_u32 s38, s28
	s_cselect_b32 s38, -1, 0
	s_cmp_eq_u32 s35, s29
	s_cselect_b32 s35, s38, s39
	s_add_u32 s38, s27, 1
	s_addc_u32 s39, 0, 0
	s_add_u32 s40, s27, 2
	s_addc_u32 s41, 0, 0
	s_cmp_lg_u32 s35, 0
	s_cselect_b32 s38, s40, s38
	s_cselect_b32 s35, s41, s39
	s_cmp_lg_u32 s25, 0
	v_readfirstlane_b32 s25, v1
	s_subb_u32 s34, 0, s34
	s_cmp_ge_u32 s34, s29
	s_cselect_b32 s39, -1, 0
	s_cmp_ge_u32 s25, s28
	s_cselect_b32 s25, -1, 0
	s_cmp_eq_u32 s34, s29
	s_cselect_b32 s25, s25, s39
	s_cmp_lg_u32 s25, 0
	s_cselect_b32 s35, s35, 0
	s_cselect_b32 s34, s38, s27
	s_cbranch_execnz .LBB0_5
.LBB0_4:                                ;   in Loop: Header=BB0_2 Depth=1
	v_cvt_f32_u32_e32 v1, s28
	s_sub_i32 s27, 0, s28
	v_rcp_iflag_f32_e32 v1, v1
	v_mul_f32_e32 v1, 0x4f7ffffe, v1
	v_cvt_u32_f32_e32 v1, v1
	v_readfirstlane_b32 s25, v1
	s_mul_i32 s27, s27, s25
	s_mul_hi_u32 s27, s25, s27
	s_add_i32 s25, s25, s27
	s_mul_hi_u32 s25, s3, s25
	s_mul_i32 s27, s25, s28
	s_add_i32 s34, s25, 1
	s_sub_i32 s27, s3, s27
	s_sub_i32 s35, s27, s28
	s_cmp_ge_u32 s27, s28
	s_cselect_b32 s25, s34, s25
	s_cselect_b32 s27, s35, s27
	s_add_i32 s34, s25, 1
	s_cmp_ge_u32 s27, s28
	s_mov_b32 s35, s24
	s_cselect_b32 s34, s34, s25
.LBB0_5:                                ;   in Loop: Header=BB0_2 Depth=1
	s_mul_i32 s25, s34, s29
	s_mul_hi_u32 s27, s34, s28
	s_mul_i32 s29, s34, s28
	s_add_i32 s25, s27, s25
	s_mul_i32 s27, s35, s28
	s_mul_i32 s7, s7, s28
	s_add_i32 s25, s25, s27
	s_sub_u32 s3, s3, s29
	s_subb_u32 s25, 0, s25
	s_add_u32 s38, s12, s30
	s_addc_u32 s39, s13, s31
	s_load_dwordx2 s[38:39], s[38:39], 0x0
	s_waitcnt lgkmcnt(0)
	s_mul_i32 s27, s38, s25
	s_mul_hi_u32 s29, s38, s3
	s_mul_i32 s35, s39, s3
	s_add_i32 s27, s29, s27
	s_mul_i32 s29, s38, s3
	s_add_i32 s27, s27, s35
	s_add_u32 s37, s29, s37
	s_addc_u32 s36, s27, s36
	s_add_u32 s30, s14, s30
	s_addc_u32 s31, s15, s31
	s_mov_b32 s27, s24
	s_load_dwordx2 s[30:31], s[30:31], 0x0
	s_mov_b64 s[28:29], s[26:27]
	v_cmp_ge_u64_e64 s27, s[26:27], s[8:9]
	s_waitcnt lgkmcnt(0)
	s_mul_i32 s25, s30, s25
	s_mul_hi_u32 s35, s30, s3
	s_mul_i32 s31, s31, s3
	s_add_i32 s25, s35, s25
	s_mul_i32 s3, s30, s3
	s_add_i32 s25, s25, s31
	s_add_u32 s4, s3, s4
	s_addc_u32 s5, s25, s5
	s_and_b32 vcc_lo, exec_lo, s27
	s_add_i32 s26, s26, 1
	s_cbranch_vccnz .LBB0_8
; %bb.6:                                ;   in Loop: Header=BB0_2 Depth=1
	s_mov_b32 s3, s34
	s_branch .LBB0_2
.LBB0_7:                                ;   in Loop: Header=BB0_2 Depth=1
                                        ; implicit-def: $sgpr34_sgpr35
	s_branch .LBB0_4
.LBB0_8:
	v_cvt_f32_u32_e32 v1, s7
	s_sub_i32 s10, 0, s7
	v_rcp_iflag_f32_e32 v1, v1
	v_mul_f32_e32 v1, 0x4f7ffffe, v1
	v_cvt_u32_f32_e32 v1, v1
	v_readfirstlane_b32 s3, v1
	s_mul_i32 s10, s10, s3
	s_mul_hi_u32 s10, s3, s10
	s_add_i32 s3, s3, s10
	s_mul_hi_u32 s3, s6, s3
	s_mul_i32 s10, s3, s7
	s_sub_i32 s6, s6, s10
	s_add_i32 s10, s3, 1
	s_sub_i32 s11, s6, s7
	s_cmp_ge_u32 s6, s7
	s_cselect_b32 s3, s10, s3
	s_cselect_b32 s6, s11, s6
	s_add_i32 s10, s3, 1
	s_cmp_ge_u32 s6, s7
	s_cselect_b32 s3, s10, s3
.LBB0_9:
	s_lshl_b64 s[6:7], s[8:9], 3
	s_mov_b32 s11, 0
	s_add_u32 s8, s12, s6
	s_addc_u32 s9, s13, s7
	s_mov_b32 s12, -1
	s_load_dwordx2 s[8:9], s[8:9], 0x0
	s_waitcnt lgkmcnt(0)
	s_mul_i32 s9, s9, s3
	s_mul_hi_u32 s10, s8, s3
	s_mul_i32 s8, s8, s3
	s_add_i32 s10, s10, s9
	s_add_u32 s8, s8, s37
	s_addc_u32 s9, s10, s36
	s_add_u32 s6, s14, s6
	s_addc_u32 s7, s15, s7
	s_add_i32 s10, s23, 0x78
	s_load_dwordx2 s[6:7], s[6:7], 0x0
	s_cmp_le_u32 s10, s33
	s_cselect_b32 s10, -1, 0
	s_and_b32 vcc_lo, exec_lo, s10
	s_cbranch_vccnz .LBB0_13
; %bb.10:
	s_lshl_b64 s[12:13], s[8:9], 4
	v_mov_b32_e32 v2, 0
	v_mov_b32_e32 v3, 0xf0f1
	;; [unrolled: 1-line block ×3, first 2 shown]
	s_add_u32 s12, s16, s12
	s_addc_u32 s13, s17, s13
	s_inst_prefetch 0x1
	.p2align	6
.LBB0_11:                               ; =>This Inner Loop Header: Depth=1
	v_mul_u32_u24_sdwa v1, v4, v3 dst_sel:DWORD dst_unused:UNUSED_PAD src0_sel:WORD_0 src1_sel:DWORD
	v_lshrrev_b32_e32 v9, 20, v1
	v_mul_lo_u16 v1, v9, 17
	v_sub_nc_u16 v10, v4, v1
	v_add_nc_u32_e32 v4, 0x78, v4
	v_and_b32_e32 v7, 0xffff, v10
	v_mad_u64_u32 v[5:6], null, s20, v7, 0
	v_mov_b32_e32 v1, v6
	v_mad_u64_u32 v[6:7], null, s21, v7, v[1:2]
	v_mul_lo_u32 v1, s22, v9
	v_lshlrev_b64 v[5:6], 4, v[5:6]
	v_lshlrev_b64 v[7:8], 4, v[1:2]
	v_add_co_u32 v1, vcc_lo, s12, v5
	v_add_co_ci_u32_e32 v6, vcc_lo, s13, v6, vcc_lo
	v_add_co_u32 v5, vcc_lo, v1, v7
	v_add_co_ci_u32_e32 v6, vcc_lo, v6, v8, vcc_lo
	v_mad_u16 v1, 0x78, v10, v9
	v_cmp_lt_u32_e32 vcc_lo, 0x7f7, v4
	global_load_dwordx4 v[5:8], v[5:6], off
	v_and_b32_e32 v1, 0xffff, v1
	s_or_b32 s11, vcc_lo, s11
	v_lshl_add_u32 v1, v1, 4, 0
	s_waitcnt vmcnt(0)
	ds_write_b128 v1, v[5:8]
	s_andn2_b32 exec_lo, exec_lo, s11
	s_cbranch_execnz .LBB0_11
; %bb.12:
	s_inst_prefetch 0x2
	s_or_b32 exec_lo, exec_lo, s11
	s_mov_b32 s12, 0
.LBB0_13:
	s_and_b32 vcc_lo, exec_lo, s12
	s_cbranch_vccz .LBB0_15
; %bb.14:
	v_mov_b32_e32 v22, 0xf10
	v_add_nc_u16 v1, v0, 0x78
	v_add_nc_u16 v5, v0, 0xf0
	;; [unrolled: 1-line block ×3, first 2 shown]
	v_mov_b32_e32 v10, 0
	v_mul_u32_u24_sdwa v2, v0, v22 dst_sel:DWORD dst_unused:UNUSED_PAD src0_sel:WORD_0 src1_sel:DWORD
	v_mul_u32_u24_sdwa v3, v1, v22 dst_sel:DWORD dst_unused:UNUSED_PAD src0_sel:WORD_0 src1_sel:DWORD
	s_lshl_b64 s[8:9], s[8:9], 4
	v_mul_u32_u24_sdwa v9, v19, v22 dst_sel:DWORD dst_unused:UNUSED_PAD src0_sel:WORD_0 src1_sel:DWORD
	v_add_nc_u16 v27, v0, 0x1e0
	v_lshrrev_b32_e32 v11, 16, v2
	v_lshrrev_b32_e32 v12, 16, v3
	v_mul_u32_u24_sdwa v3, v5, v22 dst_sel:DWORD dst_unused:UNUSED_PAD src0_sel:WORD_0 src1_sel:DWORD
	v_lshrrev_b32_e32 v17, 16, v9
	s_add_u32 s8, s16, s8
	v_mul_lo_u16 v2, v11, 17
	v_mul_lo_u16 v4, v12, 17
	v_lshrrev_b32_e32 v13, 16, v3
	v_mul_lo_u32 v9, s22, v11
	v_mul_lo_u16 v26, v17, 17
	v_sub_nc_u16 v14, v0, v2
	v_sub_nc_u16 v15, v1, v4
	v_mul_lo_u16 v7, v13, 17
	s_addc_u32 s9, s17, s9
	v_sub_nc_u16 v19, v19, v26
	v_and_b32_e32 v6, 0xffff, v14
	v_and_b32_e32 v8, 0xffff, v15
	v_sub_nc_u16 v16, v5, v7
	v_mul_u32_u24_sdwa v18, v27, v22 dst_sel:DWORD dst_unused:UNUSED_PAD src0_sel:WORD_0 src1_sel:DWORD
	v_and_b32_e32 v28, 0xffff, v19
	v_mad_u64_u32 v[1:2], null, s20, v6, 0
	v_mad_u64_u32 v[3:4], null, s20, v8, 0
	v_and_b32_e32 v25, 0xffff, v16
	v_lshrrev_b32_e32 v18, 16, v18
	v_add_nc_u16 v31, v0, 0x258
	v_add_nc_u16 v36, v0, 0x2d0
	v_mad_u64_u32 v[20:21], null, s20, v25, 0
	v_mad_u64_u32 v[5:6], null, s21, v6, v[2:3]
	v_mul_lo_u16 v29, v18, 17
	v_mul_u32_u24_sdwa v32, v36, v22 dst_sel:DWORD dst_unused:UNUSED_PAD src0_sel:WORD_0 src1_sel:DWORD
	v_mad_u64_u32 v[6:7], null, s21, v8, v[4:5]
	v_mov_b32_e32 v2, v5
	v_mov_b32_e32 v5, v21
	v_lshlrev_b64 v[7:8], 4, v[9:10]
	v_mul_lo_u32 v9, s22, v12
	v_lshlrev_b64 v[1:2], 4, v[1:2]
	v_mov_b32_e32 v4, v6
	v_mad_u64_u32 v[5:6], null, s21, v25, v[5:6]
	v_mad_u64_u32 v[25:26], null, s20, v28, 0
	v_lshlrev_b64 v[3:4], 4, v[3:4]
	v_add_co_u32 v1, vcc_lo, s8, v1
	v_add_co_ci_u32_e32 v2, vcc_lo, s9, v2, vcc_lo
	v_lshlrev_b64 v[23:24], 4, v[9:10]
	v_add_co_u32 v3, vcc_lo, s8, v3
	v_add_co_ci_u32_e32 v4, vcc_lo, s9, v4, vcc_lo
	v_add_co_u32 v1, vcc_lo, v1, v7
	v_mov_b32_e32 v21, v5
	v_add_co_ci_u32_e32 v2, vcc_lo, v2, v8, vcc_lo
	v_add_co_u32 v3, vcc_lo, v3, v23
	v_add_co_ci_u32_e32 v4, vcc_lo, v4, v24, vcc_lo
	v_mul_lo_u32 v9, s22, v13
	v_lshlrev_b64 v[23:24], 4, v[20:21]
	v_mul_u32_u24_sdwa v21, v31, v22 dst_sel:DWORD dst_unused:UNUSED_PAD src0_sel:WORD_0 src1_sel:DWORD
	v_sub_nc_u16 v20, v27, v29
	s_clause 0x1
	global_load_dwordx4 v[5:8], v[1:2], off
	global_load_dwordx4 v[1:4], v[3:4], off
	v_add_co_u32 v29, vcc_lo, s8, v23
	v_add_co_ci_u32_e32 v30, vcc_lo, s9, v24, vcc_lo
	v_lshlrev_b64 v[23:24], 4, v[9:10]
	v_mov_b32_e32 v9, v26
	v_lshrrev_b32_e32 v21, 16, v21
	v_and_b32_e32 v33, 0xffff, v20
	v_mad_u64_u32 v[26:27], null, s21, v28, v[9:10]
	v_mul_lo_u16 v9, v21, 17
	v_add_co_u32 v29, vcc_lo, v29, v23
	v_mad_u64_u32 v[27:28], null, s20, v33, 0
	v_sub_nc_u16 v23, v31, v9
	v_add_co_ci_u32_e32 v30, vcc_lo, v30, v24, vcc_lo
	v_lshrrev_b32_e32 v24, 16, v32
	v_lshlrev_b64 v[31:32], 4, v[25:26]
	v_and_b32_e32 v38, 0xffff, v23
	v_mad_u64_u32 v[33:34], null, s21, v33, v[28:29]
	v_mul_lo_u16 v25, v24, 17
	v_mul_lo_u32 v9, s22, v17
	v_mad_u64_u32 v[34:35], null, s20, v38, 0
	v_add_co_u32 v40, vcc_lo, s8, v31
	v_sub_nc_u16 v25, v36, v25
	v_mov_b32_e32 v28, v33
	v_add_co_ci_u32_e32 v41, vcc_lo, s9, v32, vcc_lo
	v_mov_b32_e32 v26, v35
	v_and_b32_e32 v42, 0xffff, v25
	v_lshlrev_b64 v[31:32], 4, v[9:10]
	v_mul_lo_u32 v9, s22, v18
	v_mad_u64_u32 v[38:39], null, s21, v38, v[26:27]
	v_mad_u64_u32 v[36:37], null, s20, v42, 0
	v_lshlrev_b64 v[26:27], 4, v[27:28]
	v_add_co_u32 v31, vcc_lo, v40, v31
	v_add_co_ci_u32_e32 v32, vcc_lo, v41, v32, vcc_lo
	v_mov_b32_e32 v35, v38
	v_mov_b32_e32 v28, v37
	v_lshlrev_b64 v[39:40], 4, v[9:10]
	v_mul_lo_u32 v9, s22, v21
	v_mad_u64_u32 v[37:38], null, s21, v42, v[28:29]
	v_add_co_u32 v28, vcc_lo, s8, v26
	v_add_co_ci_u32_e32 v33, vcc_lo, s9, v27, vcc_lo
	v_lshlrev_b64 v[26:27], 4, v[34:35]
	v_add_co_u32 v34, vcc_lo, v28, v39
	v_add_co_ci_u32_e32 v35, vcc_lo, v33, v40, vcc_lo
	v_lshlrev_b64 v[38:39], 4, v[9:10]
	v_mul_lo_u32 v9, s22, v24
	v_add_co_u32 v28, vcc_lo, s8, v26
	v_add_co_ci_u32_e32 v33, vcc_lo, s9, v27, vcc_lo
	v_lshlrev_b64 v[26:27], 4, v[36:37]
	v_add_co_u32 v38, vcc_lo, v28, v38
	v_add_co_ci_u32_e32 v39, vcc_lo, v33, v39, vcc_lo
	v_lshlrev_b64 v[36:37], 4, v[9:10]
	v_add_co_u32 v9, vcc_lo, s8, v26
	v_add_co_ci_u32_e32 v26, vcc_lo, s9, v27, vcc_lo
	v_add_nc_u16 v27, v0, 0x348
	v_add_co_u32 v42, vcc_lo, v9, v36
	v_add_nc_u16 v28, v0, 0x3c0
	v_add_nc_u16 v33, v0, 0x438
	v_add_co_ci_u32_e32 v43, vcc_lo, v26, v37, vcc_lo
	v_mul_u32_u24_sdwa v9, v27, v22 dst_sel:DWORD dst_unused:UNUSED_PAD src0_sel:WORD_0 src1_sel:DWORD
	v_add_nc_u16 v37, v0, 0x4b0
	v_mul_u32_u24_sdwa v26, v28, v22 dst_sel:DWORD dst_unused:UNUSED_PAD src0_sel:WORD_0 src1_sel:DWORD
	v_mul_u32_u24_sdwa v36, v33, v22 dst_sel:DWORD dst_unused:UNUSED_PAD src0_sel:WORD_0 src1_sel:DWORD
	v_add_nc_u16 v40, v0, 0x528
	v_lshrrev_b32_e32 v86, 16, v9
	v_mul_u32_u24_sdwa v9, v37, v22 dst_sel:DWORD dst_unused:UNUSED_PAD src0_sel:WORD_0 src1_sel:DWORD
	v_lshrrev_b32_e32 v87, 16, v26
	v_lshrrev_b32_e32 v88, 16, v36
	v_mul_u32_u24_sdwa v26, v40, v22 dst_sel:DWORD dst_unused:UNUSED_PAD src0_sel:WORD_0 src1_sel:DWORD
	v_mul_lo_u16 v36, v86, 17
	v_lshrrev_b32_e32 v89, 16, v9
	v_mul_lo_u16 v41, v87, 17
	v_mul_lo_u16 v44, v88, 17
	v_lshrrev_b32_e32 v90, 16, v26
	v_sub_nc_u16 v91, v27, v36
	v_mul_lo_u16 v9, v89, 17
	v_add_nc_u16 v27, v0, 0x5a0
	v_sub_nc_u16 v92, v28, v41
	v_mul_lo_u16 v26, v90, 17
	v_add_nc_u16 v28, v0, 0x618
	v_sub_nc_u16 v94, v37, v9
	v_mul_u32_u24_sdwa v9, v27, v22 dst_sel:DWORD dst_unused:UNUSED_PAD src0_sel:WORD_0 src1_sel:DWORD
	v_sub_nc_u16 v93, v33, v44
	v_sub_nc_u16 v95, v40, v26
	v_mul_u32_u24_sdwa v26, v28, v22 dst_sel:DWORD dst_unused:UNUSED_PAD src0_sel:WORD_0 src1_sel:DWORD
	v_add_nc_u16 v33, v0, 0x690
	v_lshrrev_b32_e32 v96, 16, v9
	v_add_nc_u16 v36, v0, 0x708
	v_or_b32_e32 v37, 0x780, v0
	v_lshrrev_b32_e32 v97, 16, v26
	v_mul_u32_u24_sdwa v40, v33, v22 dst_sel:DWORD dst_unused:UNUSED_PAD src0_sel:WORD_0 src1_sel:DWORD
	v_mul_lo_u16 v26, v96, 17
	v_mul_u32_u24_sdwa v9, v36, v22 dst_sel:DWORD dst_unused:UNUSED_PAD src0_sel:WORD_0 src1_sel:DWORD
	v_and_b32_e32 v56, 0xffff, v91
	v_and_b32_e32 v58, 0xffff, v92
	;; [unrolled: 1-line block ×3, first 2 shown]
	v_sub_nc_u16 v101, v27, v26
	v_lshrrev_b32_e32 v98, 16, v40
	v_mul_u32_u24_sdwa v22, v37, v22 dst_sel:DWORD dst_unused:UNUSED_PAD src0_sel:WORD_0 src1_sel:DWORD
	v_lshrrev_b32_e32 v99, 16, v9
	v_and_b32_e32 v61, 0xffff, v94
	v_mad_u64_u32 v[44:45], null, s20, v56, 0
	v_mul_lo_u16 v40, v97, 17
	v_and_b32_e32 v63, 0xffff, v95
	v_mad_u64_u32 v[46:47], null, s20, v58, 0
	v_and_b32_e32 v64, 0xffff, v101
	v_mad_u64_u32 v[48:49], null, s20, v59, 0
	v_mul_lo_u16 v9, v98, 17
	v_lshrrev_b32_e32 v100, 16, v22
	v_mul_lo_u16 v22, v99, 17
	v_mad_u64_u32 v[50:51], null, s20, v61, 0
	v_sub_nc_u16 v102, v28, v40
	v_mad_u64_u32 v[52:53], null, s20, v63, 0
	v_mad_u64_u32 v[54:55], null, s20, v64, 0
	v_sub_nc_u16 v103, v33, v9
	v_mov_b32_e32 v9, v45
	v_sub_nc_u16 v104, v36, v22
	v_mov_b32_e32 v22, v47
	v_mov_b32_e32 v45, v49
	v_and_b32_e32 v49, 0xffff, v102
	v_mov_b32_e32 v47, v51
	v_mad_u64_u32 v[56:57], null, s21, v56, v[9:10]
	v_mov_b32_e32 v9, v53
	v_mad_u64_u32 v[57:58], null, s21, v58, v[22:23]
	v_mad_u64_u32 v[58:59], null, s21, v59, v[45:46]
	v_mov_b32_e32 v22, v55
	v_mad_u64_u32 v[59:60], null, s20, v49, 0
	v_and_b32_e32 v51, 0xffff, v103
	v_mad_u64_u32 v[61:62], null, s21, v61, v[47:48]
	v_mad_u64_u32 v[62:63], null, s21, v63, v[9:10]
	;; [unrolled: 1-line block ×4, first 2 shown]
	v_mov_b32_e32 v9, v60
	v_mov_b32_e32 v45, v56
	;; [unrolled: 1-line block ×3, first 2 shown]
	v_and_b32_e32 v55, 0xffff, v104
	v_mov_b32_e32 v53, v62
	v_mad_u64_u32 v[68:69], null, s21, v49, v[9:10]
	v_mov_b32_e32 v9, v65
	v_lshlrev_b64 v[44:45], 4, v[44:45]
	v_lshlrev_b64 v[46:47], 4, v[46:47]
	v_mov_b32_e32 v49, v58
	v_mad_u64_u32 v[66:67], null, s20, v55, 0
	v_mad_u64_u32 v[56:57], null, s21, v51, v[9:10]
	v_mul_lo_u32 v9, s22, v86
	v_mov_b32_e32 v60, v68
	v_add_co_u32 v58, vcc_lo, s8, v44
	v_mov_b32_e32 v51, v61
	v_lshlrev_b64 v[48:49], 4, v[48:49]
	v_mov_b32_e32 v65, v56
	v_lshlrev_b64 v[56:57], 4, v[59:60]
	v_add_co_ci_u32_e32 v59, vcc_lo, s9, v45, vcc_lo
	v_lshlrev_b64 v[44:45], 4, v[9:10]
	v_mul_lo_u32 v9, s22, v87
	v_add_co_u32 v60, vcc_lo, s8, v46
	v_add_co_ci_u32_e32 v61, vcc_lo, s9, v47, vcc_lo
	v_add_co_u32 v46, vcc_lo, v58, v44
	v_add_co_ci_u32_e32 v47, vcc_lo, v59, v45, vcc_lo
	v_lshlrev_b64 v[44:45], 4, v[9:10]
	v_mul_lo_u32 v9, s22, v88
	v_add_co_u32 v48, vcc_lo, s8, v48
	v_lshlrev_b64 v[50:51], 4, v[50:51]
	v_add_co_ci_u32_e32 v49, vcc_lo, s9, v49, vcc_lo
	v_add_co_u32 v58, vcc_lo, v60, v44
	v_add_co_ci_u32_e32 v59, vcc_lo, v61, v45, vcc_lo
	v_lshlrev_b64 v[44:45], 4, v[9:10]
	v_mul_lo_u32 v9, s22, v89
	v_mov_b32_e32 v22, v67
	v_add_co_u32 v50, vcc_lo, s8, v50
	v_lshlrev_b64 v[52:53], 4, v[52:53]
	v_add_co_ci_u32_e32 v51, vcc_lo, s9, v51, vcc_lo
	v_add_co_u32 v60, vcc_lo, v48, v44
	v_mad_u64_u32 v[71:72], null, s21, v55, v[22:23]
	v_mov_b32_e32 v55, v63
	v_add_co_ci_u32_e32 v61, vcc_lo, v49, v45, vcc_lo
	v_lshlrev_b64 v[44:45], 4, v[9:10]
	v_mul_lo_u32 v9, s22, v90
	v_mul_lo_u16 v40, v100, 17
	v_add_co_u32 v48, vcc_lo, s8, v52
	v_lshlrev_b64 v[54:55], 4, v[54:55]
	v_add_co_ci_u32_e32 v49, vcc_lo, s9, v53, vcc_lo
	v_sub_nc_u16 v105, v37, v40
	v_add_co_u32 v62, vcc_lo, v50, v44
	v_add_co_ci_u32_e32 v63, vcc_lo, v51, v45, vcc_lo
	v_lshlrev_b64 v[44:45], 4, v[9:10]
	v_mul_lo_u32 v9, s22, v96
	v_and_b32_e32 v80, 0xffff, v105
	v_add_co_u32 v50, vcc_lo, s8, v54
	v_add_co_ci_u32_e32 v51, vcc_lo, s9, v55, vcc_lo
	v_lshlrev_b64 v[72:73], 4, v[64:65]
	v_add_co_u32 v64, vcc_lo, v48, v44
	v_mad_u64_u32 v[69:70], null, s20, v80, 0
	v_add_co_ci_u32_e32 v65, vcc_lo, v49, v45, vcc_lo
	v_lshlrev_b64 v[44:45], 4, v[9:10]
	v_mul_lo_u32 v9, s22, v97
	s_clause 0x3
	global_load_dwordx4 v[26:29], v[29:30], off
	global_load_dwordx4 v[30:33], v[31:32], off
	;; [unrolled: 1-line block ×4, first 2 shown]
	v_mov_b32_e32 v22, v70
	v_add_co_u32 v70, vcc_lo, s8, v56
	v_add_co_ci_u32_e32 v77, vcc_lo, s9, v57, vcc_lo
	v_lshlrev_b64 v[67:68], 4, v[9:10]
	v_mul_lo_u32 v9, s22, v98
	v_add_co_u32 v74, vcc_lo, v50, v44
	v_add_co_ci_u32_e32 v75, vcc_lo, v51, v45, vcc_lo
	s_clause 0x1
	global_load_dwordx4 v[42:45], v[42:43], off
	global_load_dwordx4 v[46:49], v[46:47], off
	v_mad_u64_u32 v[80:81], null, s21, v80, v[22:23]
	v_add_co_u32 v76, vcc_lo, v70, v67
	v_lshlrev_b64 v[78:79], 4, v[9:10]
	v_mul_lo_u32 v9, s22, v99
	v_add_co_ci_u32_e32 v77, vcc_lo, v77, v68, vcc_lo
	v_mov_b32_e32 v67, v71
	v_add_co_u32 v22, vcc_lo, s8, v72
	v_add_co_ci_u32_e32 v68, vcc_lo, s9, v73, vcc_lo
	v_mov_b32_e32 v70, v80
	v_lshlrev_b64 v[66:67], 4, v[66:67]
	v_add_co_u32 v78, vcc_lo, v22, v78
	v_lshlrev_b64 v[71:72], 4, v[9:10]
	v_mul_lo_u32 v9, s22, v100
	s_clause 0x3
	global_load_dwordx4 v[50:53], v[58:59], off
	global_load_dwordx4 v[54:57], v[60:61], off
	;; [unrolled: 1-line block ×4, first 2 shown]
	v_add_co_ci_u32_e32 v79, vcc_lo, v68, v79, vcc_lo
	v_lshlrev_b64 v[68:69], 4, v[69:70]
	v_add_co_u32 v22, vcc_lo, s8, v66
	v_add_co_ci_u32_e32 v66, vcc_lo, s9, v67, vcc_lo
	v_lshlrev_b64 v[9:10], 4, v[9:10]
	v_add_co_u32 v67, vcc_lo, s8, v68
	v_add_co_ci_u32_e32 v68, vcc_lo, s9, v69, vcc_lo
	v_add_co_u32 v80, vcc_lo, v22, v71
	v_add_co_ci_u32_e32 v81, vcc_lo, v66, v72, vcc_lo
	;; [unrolled: 2-line block ×3, first 2 shown]
	s_clause 0x4
	global_load_dwordx4 v[66:69], v[74:75], off
	global_load_dwordx4 v[70:73], v[76:77], off
	;; [unrolled: 1-line block ×5, first 2 shown]
	v_mul_lo_u16 v9, 0x78, v14
	v_mad_u16 v10, 0x78, v15, v12
	v_mad_u16 v12, 0x78, v19, v17
	;; [unrolled: 1-line block ×4, first 2 shown]
	v_or_b32_e32 v9, v9, v11
	v_mad_u16 v11, 0x78, v16, v13
	v_and_b32_e32 v10, 0xffff, v10
	v_mad_u16 v13, 0x78, v20, v18
	v_and_b32_e32 v9, 0xffff, v9
	v_and_b32_e32 v11, 0xffff, v11
	v_lshl_add_u32 v10, v10, 4, 0
	v_lshl_add_u32 v9, v9, 4, 0
	s_waitcnt vmcnt(16)
	ds_write_b128 v9, v[5:8]
	v_and_b32_e32 v5, 0xffff, v12
	s_waitcnt vmcnt(15)
	ds_write_b128 v10, v[1:4]
	v_lshl_add_u32 v1, v11, 4, 0
	v_and_b32_e32 v2, 0xffff, v14
	v_and_b32_e32 v6, 0xffff, v13
	;; [unrolled: 1-line block ×3, first 2 shown]
	v_lshl_add_u32 v4, v5, 4, 0
	v_lshl_add_u32 v5, v6, 4, 0
	s_waitcnt vmcnt(14)
	ds_write_b128 v1, v[26:29]
	v_lshl_add_u32 v1, v2, 4, 0
	v_lshl_add_u32 v2, v3, 4, 0
	v_mad_u16 v3, 0x78, v91, v86
	s_waitcnt vmcnt(13)
	ds_write_b128 v4, v[30:33]
	s_waitcnt vmcnt(12)
	ds_write_b128 v5, v[34:37]
	;; [unrolled: 2-line block ×4, first 2 shown]
	v_mad_u16 v1, 0x78, v92, v87
	v_mad_u16 v2, 0x78, v93, v88
	v_mad_u16 v4, 0x78, v94, v89
	v_mad_u16 v5, 0x78, v95, v90
	v_and_b32_e32 v3, 0xffff, v3
	v_and_b32_e32 v1, 0xffff, v1
	;; [unrolled: 1-line block ×5, first 2 shown]
	v_lshl_add_u32 v3, v3, 4, 0
	v_lshl_add_u32 v1, v1, 4, 0
	;; [unrolled: 1-line block ×5, first 2 shown]
	s_waitcnt vmcnt(9)
	ds_write_b128 v3, v[46:49]
	s_waitcnt vmcnt(8)
	ds_write_b128 v1, v[50:53]
	;; [unrolled: 2-line block ×5, first 2 shown]
	v_mad_u16 v1, 0x78, v101, v96
	v_mad_u16 v2, 0x78, v102, v97
	v_mad_u16 v3, 0x78, v103, v98
	v_mad_u16 v4, 0x78, v104, v99
	v_mad_u16 v5, 0x78, v105, v100
	v_and_b32_e32 v1, 0xffff, v1
	v_and_b32_e32 v2, 0xffff, v2
	;; [unrolled: 1-line block ×5, first 2 shown]
	v_lshl_add_u32 v1, v1, 4, 0
	v_lshl_add_u32 v2, v2, 4, 0
	;; [unrolled: 1-line block ×5, first 2 shown]
	s_waitcnt vmcnt(4)
	ds_write_b128 v1, v[66:69]
	s_waitcnt vmcnt(3)
	ds_write_b128 v2, v[70:73]
	;; [unrolled: 2-line block ×5, first 2 shown]
.LBB0_15:
	v_mov_b32_e32 v1, 0x223
	s_waitcnt lgkmcnt(0)
	s_barrier
	buffer_gl0_inv
	v_mul_u32_u24_sdwa v1, v0, v1 dst_sel:DWORD dst_unused:UNUSED_PAD src0_sel:WORD_0 src1_sel:DWORD
	v_lshrrev_b32_e32 v1, 16, v1
	v_mul_lo_u16 v1, 0x78, v1
	v_sub_nc_u16 v1, v0, v1
	v_and_b32_e32 v32, 0xffff, v1
	v_add_nc_u32_e32 v1, s23, v32
	v_cmp_gt_u32_e32 vcc_lo, s33, v1
	s_or_b32 s8, s10, vcc_lo
	s_and_saveexec_b32 s9, s8
	s_cbranch_execz .LBB0_17
; %bb.16:
	v_mul_hi_u32 v37, 0x2222223, v0
	v_lshlrev_b32_e32 v0, 4, v32
	v_mad_u64_u32 v[34:35], null, s0, v32, 0
	s_mul_i32 s0, s7, s3
	s_mul_hi_u32 s30, s6, s3
	s_mul_i32 s58, s6, s3
	s_mov_b32 s10, 0x75d4884
	v_mul_u32_u24_e32 v1, 0x780, v37
	v_mul_u32_u24_e32 v37, 17, v37
	s_mov_b32 s12, 0x2a9d6da3
	s_mov_b32 s6, 0x370991
	s_mov_b32 s8, 0x5d8e7cdc
	v_add3_u32 v36, 0, v1, v0
	s_mov_b32 s11, 0x3fe7a5f6
	s_mov_b32 s13, 0xbfe58eea
	;; [unrolled: 1-line block ×4, first 2 shown]
	ds_read_b128 v[0:3], v36
	ds_read_b128 v[4:7], v36 offset:1920
	ds_read_b128 v[24:27], v36 offset:3840
	;; [unrolled: 1-line block ×3, first 2 shown]
	v_mad_u64_u32 v[50:51], null, s1, v32, v[35:36]
	v_mul_lo_u32 v32, v37, s2
	s_add_i32 s59, s30, s0
	v_mov_b32_e32 v33, 0
	s_lshl_b64 s[58:59], s[58:59], 4
	s_mov_b32 s20, 0x3259b75e
	s_add_u32 s0, s18, s58
	v_mov_b32_e32 v35, v50
	s_addc_u32 s3, s19, s59
	s_lshl_b64 s[4:5], s[4:5], 4
	v_lshlrev_b64 v[50:51], 4, v[32:33]
	s_add_u32 s0, s0, s4
	v_lshlrev_b64 v[34:35], 4, v[34:35]
	s_addc_u32 s1, s3, s5
	s_mov_b32 s52, 0xeb564b22
	s_mov_b32 s21, 0x3fb79ee6
	;; [unrolled: 1-line block ×3, first 2 shown]
	s_waitcnt lgkmcnt(2)
	v_add_f64 v[8:9], v[2:3], v[6:7]
	v_add_f64 v[10:11], v[0:1], v[4:5]
	v_add_co_u32 v200, vcc_lo, s0, v34
	v_add_co_ci_u32_e32 v201, vcc_lo, s1, v35, vcc_lo
	s_mov_b32 s14, 0x2b2883cd
	v_add_co_u32 v190, vcc_lo, v200, v50
	v_add_co_ci_u32_e32 v191, vcc_lo, v201, v51, vcc_lo
	s_mov_b32 s16, 0x7c9e640b
	s_mov_b32 s22, 0x6ed5f1bb
	;; [unrolled: 1-line block ×11, first 2 shown]
	s_waitcnt lgkmcnt(1)
	v_add_f64 v[8:9], v[8:9], v[26:27]
	v_add_f64 v[10:11], v[10:11], v[24:25]
	s_mov_b32 s35, 0x3fc7851a
	s_mov_b32 s49, 0xbfc7851a
	;; [unrolled: 1-line block ×20, first 2 shown]
	s_waitcnt lgkmcnt(0)
	v_add_f64 v[12:13], v[8:9], v[18:19]
	v_add_f64 v[14:15], v[10:11], v[16:17]
	ds_read_b128 v[20:23], v36 offset:7680
	ds_read_b128 v[8:11], v36 offset:9600
	s_mov_b32 s55, 0x3fe58eea
	s_mov_b32 s57, 0x3fefdd0d
	;; [unrolled: 1-line block ×4, first 2 shown]
	v_add_nc_u32_e32 v32, s2, v32
	ds_read_b128 v[28:31], v36 offset:13440
	ds_read_b128 v[42:45], v36 offset:17280
	v_lshlrev_b64 v[196:197], 4, v[32:33]
	v_add_nc_u32_e32 v32, s2, v32
	s_waitcnt lgkmcnt(3)
	v_add_f64 v[12:13], v[12:13], v[22:23]
	v_add_f64 v[14:15], v[14:15], v[20:21]
	s_waitcnt lgkmcnt(2)
	v_add_f64 v[38:39], v[12:13], v[10:11]
	v_add_f64 v[40:41], v[14:15], v[8:9]
	ds_read_b128 v[12:15], v36 offset:11520
	s_waitcnt lgkmcnt(0)
	v_add_f64 v[38:39], v[38:39], v[14:15]
	v_add_f64 v[40:41], v[40:41], v[12:13]
	v_add_f64 v[46:47], v[38:39], v[30:31]
	v_add_f64 v[48:49], v[40:41], v[28:29]
	ds_read_b128 v[38:41], v36 offset:15360
	ds_read_b128 v[178:181], v36 offset:30720
	;; [unrolled: 1-line block ×8, first 2 shown]
	s_waitcnt lgkmcnt(6)
	v_add_f64 v[172:173], v[6:7], v[180:181]
	v_add_f64 v[46:47], v[46:47], v[40:41]
	;; [unrolled: 1-line block ×3, first 2 shown]
	v_add_f64 v[162:163], v[6:7], -v[180:181]
	v_add_f64 v[160:161], v[4:5], -v[178:179]
	v_add_f64 v[158:159], v[4:5], v[178:179]
	s_waitcnt lgkmcnt(5)
	v_add_f64 v[156:157], v[26:27], v[184:185]
	v_add_f64 v[154:155], v[26:27], -v[184:185]
	s_waitcnt lgkmcnt(4)
	v_add_f64 v[148:149], v[18:19], v[188:189]
	v_add_f64 v[146:147], v[18:19], -v[188:189]
	v_add_f64 v[108:109], v[24:25], -v[182:183]
	v_add_f64 v[106:107], v[24:25], v[182:183]
	v_add_f64 v[24:25], v[40:41], v[44:45]
	v_add_f64 v[26:27], v[40:41], -v[44:45]
	s_waitcnt lgkmcnt(2)
	v_add_f64 v[76:77], v[14:15], v[60:61]
	v_add_f64 v[66:67], v[14:15], -v[60:61]
	s_waitcnt lgkmcnt(0)
	v_add_f64 v[50:51], v[8:9], -v[62:63]
	v_add_f64 v[56:57], v[30:31], v[54:55]
	v_add_f64 v[34:35], v[12:13], -v[58:59]
	v_add_f64 v[138:139], v[22:23], v[80:81]
	v_add_f64 v[140:141], v[22:23], -v[80:81]
	v_add_f64 v[88:89], v[16:17], -v[186:187]
	v_mul_f64 v[168:169], v[172:173], s[6:7]
	v_add_f64 v[36:37], v[46:47], v[44:45]
	v_add_f64 v[46:47], v[48:49], v[42:43]
	v_mul_f64 v[164:165], v[162:163], s[8:9]
	v_mul_f64 v[170:171], v[172:173], s[10:11]
	;; [unrolled: 1-line block ×3, first 2 shown]
	v_add_f64 v[48:49], v[8:9], v[62:63]
	v_add_f64 v[44:45], v[30:31], -v[54:55]
	v_add_f64 v[30:31], v[12:13], v[58:59]
	v_mul_f64 v[132:133], v[156:157], s[10:11]
	v_mul_f64 v[128:129], v[154:155], s[12:13]
	;; [unrolled: 1-line block ×4, first 2 shown]
	v_add_f64 v[86:87], v[16:17], v[186:187]
	v_add_f64 v[96:97], v[10:11], v[64:65]
	v_add_f64 v[92:93], v[10:11], -v[64:65]
	v_mul_f64 v[120:121], v[148:149], s[14:15]
	v_mul_f64 v[114:115], v[146:147], s[16:17]
	;; [unrolled: 1-line block ×6, first 2 shown]
	v_fma_f64 v[8:9], v[160:161], s[8:9], v[168:169]
	v_add_f64 v[4:5], v[36:37], v[54:55]
	v_add_f64 v[6:7], v[46:47], v[52:53]
	v_fma_f64 v[12:13], v[158:159], s[6:7], -v[164:165]
	v_fma_f64 v[14:15], v[160:161], s[12:13], v[170:171]
	v_fma_f64 v[198:199], v[158:159], s[10:11], -v[166:167]
	v_mul_f64 v[10:11], v[172:173], s[28:29]
	v_mul_f64 v[194:195], v[162:163], s[48:49]
	v_add_f64 v[70:71], v[20:21], -v[78:79]
	v_fma_f64 v[224:225], v[108:109], s[12:13], v[132:133]
	v_fma_f64 v[226:227], v[106:107], s[10:11], -v[128:129]
	v_fma_f64 v[230:231], v[108:109], s[52:53], v[136:137]
	v_fma_f64 v[234:235], v[106:107], s[20:21], -v[134:135]
	v_add_f64 v[68:69], v[20:21], v[78:79]
	v_mul_f64 v[104:105], v[138:139], s[20:21]
	v_mul_f64 v[102:103], v[140:141], s[52:53]
	;; [unrolled: 1-line block ×8, first 2 shown]
	v_add_f64 v[8:9], v[2:3], v[8:9]
	v_add_f64 v[4:5], v[4:5], v[60:61]
	;; [unrolled: 1-line block ×6, first 2 shown]
	v_mul_f64 v[222:223], v[172:173], s[24:25]
	v_fma_f64 v[236:237], v[160:161], s[16:17], v[176:177]
	v_fma_f64 v[238:239], v[158:159], s[14:15], -v[174:175]
	v_fma_f64 v[240:241], v[158:159], s[28:29], v[194:195]
	v_fma_f64 v[242:243], v[88:89], s[16:17], v[120:121]
	;; [unrolled: 1-line block ×3, first 2 shown]
	v_fma_f64 v[246:247], v[86:87], s[14:15], -v[114:115]
	v_fma_f64 v[248:249], v[88:89], s[30:31], v[126:127]
	v_fma_f64 v[250:251], v[86:87], s[22:23], -v[122:123]
	v_mul_f64 v[84:85], v[96:97], s[36:37]
	v_mul_f64 v[82:83], v[92:93], s[40:41]
	;; [unrolled: 1-line block ×7, first 2 shown]
	v_add_f64 v[224:225], v[224:225], v[8:9]
	v_add_f64 v[4:5], v[4:5], v[64:65]
	;; [unrolled: 1-line block ×6, first 2 shown]
	v_mul_f64 v[206:207], v[146:147], s[44:45]
	v_mul_f64 v[14:15], v[154:155], s[50:51]
	v_fma_f64 v[194:195], v[158:159], s[28:29], -v[194:195]
	v_fma_f64 v[228:229], v[108:109], s[30:31], v[152:153]
	v_fma_f64 v[232:233], v[106:107], s[22:23], -v[150:151]
	v_fma_f64 v[234:235], v[160:161], s[26:27], v[222:223]
	v_add_f64 v[236:237], v[2:3], v[236:237]
	v_add_f64 v[238:239], v[0:1], v[238:239]
	v_mul_f64 v[64:65], v[76:77], s[22:23]
	v_mul_f64 v[74:75], v[76:77], s[36:37]
	;; [unrolled: 1-line block ×7, first 2 shown]
	v_fma_f64 v[254:255], v[50:51], s[40:41], v[84:85]
	v_add_f64 v[224:225], v[242:243], v[224:225]
	v_add_f64 v[4:5], v[4:5], v[80:81]
	;; [unrolled: 1-line block ×3, first 2 shown]
	v_fma_f64 v[242:243], v[68:69], s[20:21], -v[102:103]
	v_add_f64 v[226:227], v[246:247], v[226:227]
	v_add_f64 v[230:231], v[248:249], v[230:231]
	v_fma_f64 v[246:247], v[68:69], s[28:29], -v[110:111]
	v_add_f64 v[198:199], v[250:251], v[198:199]
	v_add_f64 v[194:195], v[0:1], v[194:195]
	v_add_f64 v[22:23], v[28:29], -v[52:53]
	v_add_f64 v[20:21], v[28:29], v[52:53]
	v_add_f64 v[234:235], v[2:3], v[234:235]
	;; [unrolled: 1-line block ×3, first 2 shown]
	v_fma_f64 v[236:237], v[106:107], s[14:15], v[14:15]
	v_add_f64 v[232:233], v[232:233], v[238:239]
	v_fma_f64 v[238:239], v[88:89], s[34:35], v[144:145]
	v_mul_f64 v[62:63], v[66:67], s[30:31]
	v_mul_f64 v[46:47], v[56:57], s[24:25]
	;; [unrolled: 1-line block ×7, first 2 shown]
	v_add_f64 v[188:189], v[4:5], v[188:189]
	v_add_f64 v[186:187], v[6:7], v[186:187]
	v_mul_f64 v[6:7], v[162:163], s[44:45]
	v_mul_f64 v[4:5], v[156:157], s[14:15]
	v_add_f64 v[226:227], v[242:243], v[226:227]
	v_fma_f64 v[242:243], v[50:51], s[26:27], v[90:91]
	v_add_f64 v[198:199], v[246:247], v[198:199]
	v_fma_f64 v[246:247], v[88:89], s[56:57], v[12:13]
	v_add_f64 v[16:17], v[38:39], -v[42:43]
	v_add_f64 v[18:19], v[38:39], v[42:43]
	v_mul_f64 v[42:43], v[44:45], s[44:45]
	v_mul_f64 v[60:61], v[56:57], s[14:15]
	;; [unrolled: 1-line block ×4, first 2 shown]
	v_add_f64 v[228:229], v[238:239], v[228:229]
	v_mul_f64 v[98:99], v[66:67], s[8:9]
	v_mul_f64 v[214:215], v[92:93], s[30:31]
	;; [unrolled: 1-line block ×7, first 2 shown]
	v_add_f64 v[184:185], v[188:189], v[184:185]
	v_add_f64 v[182:183], v[186:187], v[182:183]
	v_fma_f64 v[188:189], v[160:161], s[34:35], v[10:11]
	v_fma_f64 v[252:253], v[158:159], s[24:25], v[6:7]
	v_mul_f64 v[186:187], v[146:147], s[52:53]
	v_fma_f64 v[248:249], v[108:109], s[16:17], v[4:5]
	v_mul_f64 v[218:219], v[66:67], s[50:51]
	v_mul_f64 v[38:39], v[24:25], s[6:7]
	;; [unrolled: 1-line block ×5, first 2 shown]
	v_fma_f64 v[222:223], v[160:161], s[44:45], v[222:223]
	v_fma_f64 v[176:177], v[160:161], s[50:51], v[176:177]
	;; [unrolled: 1-line block ×11, first 2 shown]
	v_add_f64 v[10:11], v[184:185], v[180:181]
	v_add_f64 v[8:9], v[182:183], v[178:179]
	v_fma_f64 v[178:179], v[108:109], s[8:9], v[192:193]
	v_add_f64 v[180:181], v[2:3], v[188:189]
	v_fma_f64 v[182:183], v[106:107], s[6:7], v[202:203]
	;; [unrolled: 2-line block ×4, first 2 shown]
	v_fma_f64 v[244:245], v[70:71], s[48:49], v[112:113]
	v_fma_f64 v[202:203], v[106:107], s[6:7], -v[202:203]
	v_add_f64 v[250:251], v[0:1], v[252:253]
	v_fma_f64 v[252:253], v[86:87], s[28:29], -v[142:143]
	v_add_f64 v[234:235], v[248:249], v[234:235]
	v_fma_f64 v[238:239], v[86:87], s[20:21], v[186:187]
	v_fma_f64 v[248:249], v[70:71], s[42:43], v[130:131]
	v_add_f64 v[222:223], v[2:3], v[222:223]
	v_fma_f64 v[186:187], v[86:87], s[20:21], -v[186:187]
	v_add_f64 v[176:177], v[2:3], v[176:177]
	v_add_f64 v[170:171], v[2:3], v[170:171]
	;; [unrolled: 1-line block ×4, first 2 shown]
	v_fma_f64 v[142:143], v[86:87], s[28:29], v[142:143]
	global_store_dwordx4 v[190:191], v[8:11], off
	v_fma_f64 v[8:9], v[30:31], s[14:15], -v[218:219]
	v_add_f64 v[180:181], v[178:179], v[180:181]
	v_mul_f64 v[178:179], v[140:141], s[38:39]
	v_add_f64 v[182:183], v[182:183], v[184:185]
	v_fma_f64 v[184:185], v[88:89], s[26:27], v[204:205]
	v_add_f64 v[188:189], v[188:189], v[192:193]
	v_fma_f64 v[192:193], v[86:87], s[24:25], v[206:207]
	v_add_f64 v[224:225], v[240:241], v[224:225]
	v_fma_f64 v[240:241], v[48:49], s[36:37], -v[82:83]
	v_add_f64 v[230:231], v[244:245], v[230:231]
	v_fma_f64 v[244:245], v[48:49], s[24:25], -v[94:95]
	v_add_f64 v[202:203], v[202:203], v[194:195]
	v_mul_f64 v[194:195], v[138:139], s[22:23]
	v_fma_f64 v[204:205], v[88:89], s[44:45], v[204:205]
	v_fma_f64 v[206:207], v[86:87], s[24:25], -v[206:207]
	v_add_f64 v[236:237], v[236:237], v[250:251]
	v_add_f64 v[232:233], v[252:253], v[232:233]
	v_fma_f64 v[250:251], v[68:69], s[36:37], -v[124:125]
	v_fma_f64 v[252:253], v[30:31], s[22:23], -v[62:63]
	v_add_f64 v[228:229], v[248:249], v[228:229]
	v_fma_f64 v[248:249], v[22:23], s[50:51], v[60:61]
	v_mul_f64 v[190:191], v[56:57], s[10:11]
	v_add_f64 v[152:153], v[152:153], v[176:177]
	v_add_f64 v[150:151], v[150:151], v[174:175]
	;; [unrolled: 1-line block ×5, first 2 shown]
	v_mul_f64 v[180:181], v[92:93], s[8:9]
	v_add_f64 v[182:183], v[192:193], v[182:183]
	v_fma_f64 v[192:193], v[34:35], s[30:31], v[64:65]
	v_add_f64 v[224:225], v[254:255], v[224:225]
	v_add_f64 v[226:227], v[240:241], v[226:227]
	v_fma_f64 v[240:241], v[34:35], s[42:43], v[74:75]
	v_add_f64 v[230:231], v[242:243], v[230:231]
	v_fma_f64 v[242:243], v[30:31], s[36:37], -v[72:73]
	v_add_f64 v[198:199], v[244:245], v[198:199]
	v_fma_f64 v[244:245], v[70:71], s[12:13], v[208:209]
	v_add_f64 v[204:205], v[204:205], v[188:189]
	v_fma_f64 v[254:255], v[68:69], s[10:11], v[210:211]
	v_add_f64 v[202:203], v[206:207], v[202:203]
	v_mul_f64 v[188:189], v[96:97], s[6:7]
	v_fma_f64 v[206:207], v[70:71], s[54:55], v[208:209]
	v_fma_f64 v[208:209], v[68:69], s[10:11], -v[210:211]
	v_add_f64 v[210:211], v[246:247], v[234:235]
	v_add_f64 v[234:235], v[238:239], v[236:237]
	v_fma_f64 v[236:237], v[50:51], s[54:55], v[118:119]
	v_fma_f64 v[238:239], v[48:49], s[10:11], -v[116:117]
	v_add_f64 v[232:233], v[250:251], v[232:233]
	v_fma_f64 v[246:247], v[22:23], s[44:45], v[46:47]
	v_fma_f64 v[250:251], v[50:51], s[38:39], v[212:213]
	;; [unrolled: 1-line block ×4, first 2 shown]
	v_add_f64 v[192:193], v[192:193], v[224:225]
	v_fma_f64 v[224:225], v[20:21], s[24:25], -v[42:43]
	v_add_f64 v[226:227], v[252:253], v[226:227]
	v_add_f64 v[230:231], v[240:241], v[230:231]
	v_fma_f64 v[240:241], v[20:21], s[14:15], -v[58:59]
	v_add_f64 v[198:199], v[242:243], v[198:199]
	v_fma_f64 v[242:243], v[70:71], s[30:31], v[194:195]
	v_add_f64 v[184:185], v[244:245], v[184:185]
	v_fma_f64 v[244:245], v[68:69], s[22:23], v[178:179]
	v_add_f64 v[182:183], v[254:255], v[182:183]
	v_fma_f64 v[252:253], v[18:19], s[28:29], -v[28:29]
	v_add_f64 v[204:205], v[206:207], v[204:205]
	v_fma_f64 v[206:207], v[48:49], s[22:23], v[214:215]
	v_add_f64 v[202:203], v[208:209], v[202:203]
	v_fma_f64 v[208:209], v[16:17], s[48:49], v[36:37]
	v_fma_f64 v[214:215], v[48:49], s[22:23], -v[214:215]
	v_add_f64 v[228:229], v[236:237], v[228:229]
	v_fma_f64 v[236:237], v[34:35], s[8:9], v[100:101]
	v_add_f64 v[232:233], v[238:239], v[232:233]
	v_fma_f64 v[238:239], v[30:31], s[6:7], -v[98:99]
	v_mul_f64 v[254:255], v[44:45], s[40:41]
	v_fma_f64 v[194:195], v[70:71], s[38:39], v[194:195]
	v_add_f64 v[246:247], v[246:247], v[192:193]
	v_mul_f64 v[192:193], v[76:77], s[28:29]
	v_add_f64 v[224:225], v[224:225], v[226:227]
	v_add_f64 v[230:231], v[248:249], v[230:231]
	v_fma_f64 v[248:249], v[18:19], s[6:7], -v[40:41]
	v_add_f64 v[198:199], v[240:241], v[198:199]
	v_add_f64 v[210:211], v[242:243], v[210:211]
	v_fma_f64 v[240:241], v[50:51], s[46:47], v[188:189]
	v_add_f64 v[234:235], v[244:245], v[234:235]
	v_fma_f64 v[242:243], v[48:49], s[6:7], v[180:181]
	v_add_f64 v[244:245], v[250:251], v[184:185]
	v_mul_f64 v[184:185], v[66:67], s[48:49]
	v_add_f64 v[250:251], v[206:207], v[182:183]
	v_add_f64 v[212:213], v[212:213], v[204:205]
	v_fma_f64 v[182:183], v[22:23], s[52:53], v[80:81]
	v_add_f64 v[214:215], v[214:215], v[202:203]
	v_fma_f64 v[202:203], v[20:21], s[20:21], -v[78:79]
	v_add_f64 v[204:205], v[236:237], v[228:229]
	v_fma_f64 v[228:229], v[34:35], s[16:17], v[216:217]
	v_add_f64 v[232:233], v[238:239], v[232:233]
	v_fma_f64 v[206:207], v[30:31], s[14:15], v[218:219]
	v_fma_f64 v[216:217], v[34:35], s[50:51], v[216:217]
	v_add_f64 v[238:239], v[208:209], v[246:247]
	v_fma_f64 v[226:227], v[16:17], s[46:47], v[38:39]
	v_add_f64 v[236:237], v[252:253], v[224:225]
	v_mul_f64 v[246:247], v[26:27], s[56:57]
	v_mul_f64 v[252:253], v[172:173], s[22:23]
	v_add_f64 v[224:225], v[248:249], v[198:199]
	v_fma_f64 v[198:199], v[34:35], s[34:35], v[192:193]
	v_add_f64 v[10:11], v[240:241], v[210:211]
	v_mul_f64 v[210:211], v[44:45], s[54:55]
	v_add_f64 v[208:209], v[242:243], v[234:235]
	v_fma_f64 v[240:241], v[16:17], s[44:45], v[52:53]
	v_fma_f64 v[218:219], v[30:31], s[28:29], v[184:185]
	v_fma_f64 v[242:243], v[18:19], s[24:25], -v[54:55]
	v_lshlrev_b64 v[234:235], 4, v[32:33]
	v_add_nc_u32_e32 v32, s2, v32
	v_add_f64 v[214:215], v[8:9], v[214:215]
	v_fma_f64 v[188:189], v[50:51], s[8:9], v[188:189]
	v_add_f64 v[182:183], v[182:183], v[204:205]
	v_add_f64 v[204:205], v[228:229], v[244:245]
	;; [unrolled: 1-line block ×4, first 2 shown]
	v_fma_f64 v[228:229], v[22:23], s[42:43], v[220:221]
	v_fma_f64 v[232:233], v[20:21], s[36:37], v[254:255]
	v_mul_f64 v[244:245], v[24:25], s[20:21]
	v_add_f64 v[212:213], v[216:217], v[212:213]
	v_fma_f64 v[216:217], v[22:23], s[40:41], v[220:221]
	v_fma_f64 v[220:221], v[20:21], s[36:37], -v[254:255]
	v_add_f64 v[226:227], v[226:227], v[230:231]
	v_add_co_u32 v230, vcc_lo, v200, v196
	v_add_co_ci_u32_e32 v231, vcc_lo, v201, v197, vcc_lo
	v_add_f64 v[248:249], v[198:199], v[10:11]
	v_add_f64 v[208:209], v[218:219], v[208:209]
	v_fma_f64 v[218:219], v[20:21], s[10:11], v[210:211]
	v_fma_f64 v[250:251], v[22:23], s[12:13], v[190:191]
	v_mul_f64 v[198:199], v[24:25], s[36:37]
	v_mul_f64 v[196:197], v[26:27], s[40:41]
	v_lshlrev_b64 v[254:255], 4, v[32:33]
	v_add_f64 v[10:11], v[240:241], v[182:183]
	v_add_co_u32 v234, vcc_lo, v200, v234
	v_add_f64 v[8:9], v[242:243], v[202:203]
	v_add_f64 v[182:183], v[228:229], v[204:205]
	;; [unrolled: 1-line block ×3, first 2 shown]
	v_fma_f64 v[204:205], v[16:17], s[52:53], v[244:245]
	v_fma_f64 v[206:207], v[18:19], s[20:21], v[246:247]
	v_add_f64 v[212:213], v[216:217], v[212:213]
	v_add_f64 v[214:215], v[220:221], v[214:215]
	v_fma_f64 v[216:217], v[16:17], s[56:57], v[244:245]
	v_fma_f64 v[220:221], v[18:19], s[20:21], -v[246:247]
	v_fma_f64 v[232:233], v[108:109], s[50:51], v[4:5]
	v_fma_f64 v[242:243], v[160:161], s[38:39], v[252:253]
	v_mul_f64 v[244:245], v[156:157], s[36:37]
	v_add_co_ci_u32_e32 v235, vcc_lo, v201, v235, vcc_lo
	v_add_f64 v[208:209], v[218:219], v[208:209]
	v_fma_f64 v[218:219], v[158:159], s[24:25], -v[6:7]
	v_add_co_u32 v4, vcc_lo, v200, v254
	v_add_co_ci_u32_e32 v5, vcc_lo, v201, v255, vcc_lo
	v_add_f64 v[228:229], v[250:251], v[248:249]
	v_fma_f64 v[240:241], v[16:17], s[42:43], v[198:199]
	v_fma_f64 v[246:247], v[18:19], s[36:37], v[196:197]
	v_mul_f64 v[248:249], v[162:163], s[30:31]
	global_store_dwordx4 v[230:231], v[236:239], off
	v_mul_f64 v[230:231], v[172:173], s[36:37]
	global_store_dwordx4 v[234:235], v[224:227], off
	;; [unrolled: 2-line block ×3, first 2 shown]
	v_add_f64 v[6:7], v[204:205], v[182:183]
	v_add_f64 v[4:5], v[206:207], v[202:203]
	;; [unrolled: 1-line block ×3, first 2 shown]
	v_mul_f64 v[182:183], v[162:163], s[40:41]
	v_add_f64 v[8:9], v[220:221], v[214:215]
	v_add_f64 v[202:203], v[232:233], v[222:223]
	v_fma_f64 v[204:205], v[88:89], s[52:53], v[12:13]
	v_fma_f64 v[212:213], v[106:107], s[14:15], -v[14:15]
	v_add_f64 v[206:207], v[0:1], v[218:219]
	v_add_f64 v[214:215], v[2:3], v[242:243]
	v_fma_f64 v[216:217], v[108:109], s[40:41], v[244:245]
	v_mul_f64 v[218:219], v[148:149], s[6:7]
	v_mul_f64 v[162:163], v[162:163], s[52:53]
	;; [unrolled: 1-line block ×3, first 2 shown]
	v_add_f64 v[14:15], v[240:241], v[228:229]
	v_add_f64 v[12:13], v[246:247], v[208:209]
	v_fma_f64 v[208:209], v[160:161], s[30:31], v[252:253]
	v_fma_f64 v[220:221], v[158:159], s[22:23], v[248:249]
	;; [unrolled: 1-line block ×6, first 2 shown]
	v_fma_f64 v[230:231], v[158:159], s[22:23], -v[248:249]
	v_fma_f64 v[160:161], v[160:161], s[46:47], v[168:169]
	v_mul_f64 v[236:237], v[154:155], s[26:27]
	v_fma_f64 v[232:233], v[158:159], s[36:37], v[182:183]
	v_fma_f64 v[168:169], v[158:159], s[36:37], -v[182:183]
	v_fma_f64 v[178:179], v[68:69], s[22:23], -v[178:179]
	v_add_f64 v[182:183], v[204:205], v[202:203]
	v_fma_f64 v[238:239], v[108:109], s[42:43], v[244:245]
	v_add_f64 v[202:203], v[212:213], v[206:207]
	v_mul_f64 v[212:213], v[138:139], s[24:25]
	v_add_f64 v[204:205], v[216:217], v[214:215]
	v_fma_f64 v[206:207], v[88:89], s[46:47], v[218:219]
	v_fma_f64 v[234:235], v[158:159], s[20:21], v[162:163]
	v_fma_f64 v[162:163], v[158:159], s[20:21], -v[162:163]
	v_fma_f64 v[158:159], v[158:159], s[6:7], v[164:165]
	v_fma_f64 v[216:217], v[106:107], s[36:37], v[222:223]
	v_add_f64 v[164:165], v[2:3], v[208:209]
	v_add_f64 v[214:215], v[0:1], v[220:221]
	v_mul_f64 v[220:221], v[146:147], s[8:9]
	v_add_f64 v[224:225], v[2:3], v[224:225]
	v_fma_f64 v[222:223], v[106:107], s[36:37], -v[222:223]
	v_mul_f64 v[242:243], v[148:149], s[10:11]
	v_add_f64 v[208:209], v[0:1], v[230:231]
	v_mul_f64 v[230:231], v[156:157], s[24:25]
	v_fma_f64 v[244:245], v[106:107], s[24:25], v[236:237]
	v_add_f64 v[232:233], v[0:1], v[232:233]
	v_mul_f64 v[246:247], v[146:147], s[54:55]
	v_fma_f64 v[180:181], v[48:49], s[6:7], -v[180:181]
	v_add_f64 v[182:183], v[194:195], v[182:183]
	v_add_f64 v[226:227], v[2:3], v[226:227]
	;; [unrolled: 1-line block ×3, first 2 shown]
	v_fma_f64 v[202:203], v[70:71], s[26:27], v[212:213]
	v_add_f64 v[228:229], v[2:3], v[228:229]
	v_add_f64 v[194:195], v[206:207], v[204:205]
	v_mul_f64 v[204:205], v[96:97], s[20:21]
	v_add_f64 v[172:173], v[2:3], v[172:173]
	v_fma_f64 v[218:219], v[88:89], s[8:9], v[218:219]
	v_add_f64 v[2:3], v[2:3], v[160:161]
	v_add_f64 v[164:165], v[238:239], v[164:165]
	;; [unrolled: 1-line block ×3, first 2 shown]
	v_fma_f64 v[214:215], v[86:87], s[6:7], v[220:221]
	v_mul_f64 v[216:217], v[140:141], s[44:45]
	v_fma_f64 v[220:221], v[86:87], s[6:7], -v[220:221]
	v_mul_f64 v[238:239], v[138:139], s[14:15]
	v_add_f64 v[208:209], v[222:223], v[208:209]
	v_fma_f64 v[240:241], v[108:109], s[44:45], v[230:231]
	v_fma_f64 v[160:161], v[108:109], s[26:27], v[230:231]
	v_add_f64 v[232:233], v[244:245], v[232:233]
	v_mul_f64 v[244:245], v[140:141], s[16:17]
	v_add_f64 v[168:169], v[0:1], v[168:169]
	v_add_f64 v[182:183], v[188:189], v[182:183]
	v_fma_f64 v[188:189], v[34:35], s[48:49], v[192:193]
	v_add_f64 v[178:179], v[178:179], v[186:187]
	v_add_f64 v[234:235], v[0:1], v[234:235]
	;; [unrolled: 1-line block ×4, first 2 shown]
	v_fma_f64 v[192:193], v[50:51], s[52:53], v[204:205]
	v_mul_f64 v[194:195], v[76:77], s[10:11]
	v_fma_f64 v[212:213], v[70:71], s[44:45], v[212:213]
	v_add_f64 v[0:1], v[0:1], v[158:159]
	v_add_f64 v[164:165], v[218:219], v[164:165]
	v_mul_f64 v[230:231], v[92:93], s[48:49]
	v_add_f64 v[202:203], v[214:215], v[206:207]
	v_fma_f64 v[206:207], v[68:69], s[24:25], v[216:217]
	v_mul_f64 v[214:215], v[92:93], s[56:57]
	v_fma_f64 v[218:219], v[70:71], s[50:51], v[238:239]
	v_add_f64 v[158:159], v[220:221], v[208:209]
	v_add_f64 v[222:223], v[240:241], v[224:225]
	v_fma_f64 v[224:225], v[88:89], s[12:13], v[242:243]
	v_fma_f64 v[240:241], v[86:87], s[10:11], v[246:247]
	v_fma_f64 v[208:209], v[68:69], s[24:25], -v[216:217]
	v_mul_f64 v[220:221], v[96:97], s[28:29]
	v_add_f64 v[160:161], v[160:161], v[226:227]
	v_add_f64 v[182:183], v[188:189], v[182:183]
	v_fma_f64 v[188:189], v[22:23], s[54:55], v[190:191]
	v_add_f64 v[178:179], v[180:181], v[178:179]
	v_fma_f64 v[180:181], v[30:31], s[28:29], -v[184:185]
	v_mul_f64 v[190:191], v[56:57], s[28:29]
	v_add_f64 v[184:185], v[192:193], v[186:187]
	v_fma_f64 v[186:187], v[34:35], s[54:55], v[194:195]
	v_fma_f64 v[226:227], v[88:89], s[54:55], v[242:243]
	v_mul_f64 v[156:157], v[156:157], s[28:29]
	v_mul_f64 v[154:155], v[154:155], s[48:49]
	v_add_f64 v[164:165], v[212:213], v[164:165]
	v_fma_f64 v[204:205], v[50:51], s[56:57], v[204:205]
	v_add_f64 v[192:193], v[206:207], v[202:203]
	v_fma_f64 v[202:203], v[48:49], s[20:21], v[214:215]
	v_mul_f64 v[206:207], v[66:67], s[12:13]
	v_mul_f64 v[148:149], v[148:149], s[36:37]
	;; [unrolled: 1-line block ×3, first 2 shown]
	v_add_f64 v[216:217], v[224:225], v[222:223]
	v_add_f64 v[222:223], v[240:241], v[232:233]
	v_fma_f64 v[224:225], v[68:69], s[14:15], v[244:245]
	v_add_f64 v[158:159], v[208:209], v[158:159]
	v_fma_f64 v[208:209], v[48:49], s[20:21], -v[214:215]
	v_fma_f64 v[214:215], v[50:51], s[34:35], v[220:221]
	v_add_f64 v[182:183], v[188:189], v[182:183]
	v_fma_f64 v[188:189], v[106:107], s[24:25], -v[236:237]
	v_add_f64 v[178:179], v[180:181], v[178:179]
	v_fma_f64 v[180:181], v[20:21], s[10:11], -v[210:211]
	v_mul_f64 v[210:211], v[44:45], s[48:49]
	v_add_f64 v[184:185], v[186:187], v[184:185]
	v_fma_f64 v[186:187], v[22:23], s[34:35], v[190:191]
	v_add_f64 v[160:161], v[226:227], v[160:161]
	v_fma_f64 v[226:227], v[70:71], s[16:17], v[238:239]
	v_fma_f64 v[194:195], v[34:35], s[12:13], v[194:195]
	v_add_f64 v[164:165], v[204:205], v[164:165]
	v_mul_f64 v[138:139], v[138:139], s[6:7]
	v_add_f64 v[192:193], v[202:203], v[192:193]
	v_fma_f64 v[202:203], v[30:31], s[10:11], v[206:207]
	v_fma_f64 v[204:205], v[30:31], s[10:11], -v[206:207]
	v_mul_f64 v[140:141], v[140:141], s[46:47]
	v_add_f64 v[212:213], v[218:219], v[216:217]
	v_mul_f64 v[216:217], v[76:77], s[20:21]
	v_add_f64 v[218:219], v[224:225], v[222:223]
	v_fma_f64 v[222:223], v[48:49], s[28:29], v[230:231]
	v_mul_f64 v[224:225], v[66:67], s[56:57]
	v_add_f64 v[158:159], v[208:209], v[158:159]
	v_add_f64 v[144:145], v[144:145], v[152:153]
	;; [unrolled: 1-line block ×3, first 2 shown]
	v_fma_f64 v[188:189], v[86:87], s[10:11], -v[246:247]
	v_add_f64 v[178:179], v[180:181], v[178:179]
	v_fma_f64 v[180:181], v[108:109], s[34:35], v[156:157]
	v_fma_f64 v[156:157], v[108:109], s[48:49], v[156:157]
	v_add_f64 v[184:185], v[186:187], v[184:185]
	v_fma_f64 v[186:187], v[106:107], s[28:29], v[154:155]
	v_fma_f64 v[154:155], v[106:107], s[28:29], -v[154:155]
	v_add_f64 v[160:161], v[226:227], v[160:161]
	v_fma_f64 v[226:227], v[88:89], s[40:41], v[148:149]
	v_fma_f64 v[148:149], v[88:89], s[42:43], v[148:149]
	v_fma_f64 v[108:109], v[108:109], s[54:55], v[132:133]
	v_fma_f64 v[106:107], v[106:107], s[10:11], v[128:129]
	v_add_f64 v[192:193], v[202:203], v[192:193]
	v_fma_f64 v[202:203], v[20:21], s[28:29], v[210:211]
	v_add_f64 v[206:207], v[214:215], v[212:213]
	v_fma_f64 v[208:209], v[34:35], s[52:53], v[216:217]
	v_add_f64 v[164:165], v[194:195], v[164:165]
	v_add_f64 v[214:215], v[222:223], v[218:219]
	v_fma_f64 v[218:219], v[30:31], s[20:21], v[224:225]
	v_add_f64 v[142:143], v[142:143], v[150:151]
	v_mul_f64 v[96:97], v[96:97], s[14:15]
	v_fma_f64 v[88:89], v[88:89], s[50:51], v[120:121]
	v_add_f64 v[168:169], v[188:189], v[168:169]
	v_fma_f64 v[188:189], v[68:69], s[14:15], -v[244:245]
	v_add_f64 v[180:181], v[180:181], v[228:229]
	v_fma_f64 v[228:229], v[86:87], s[36:37], v[146:147]
	v_add_f64 v[156:157], v[156:157], v[172:173]
	v_add_f64 v[186:187], v[186:187], v[234:235]
	;; [unrolled: 1-line block ×3, first 2 shown]
	v_fma_f64 v[146:147], v[86:87], s[36:37], -v[146:147]
	v_fma_f64 v[172:173], v[22:23], s[48:49], v[190:191]
	v_fma_f64 v[190:191], v[20:21], s[28:29], -v[210:211]
	v_fma_f64 v[210:211], v[34:35], s[56:57], v[216:217]
	v_fma_f64 v[216:217], v[68:69], s[6:7], v[140:141]
	v_add_f64 v[108:109], v[108:109], v[2:3]
	v_mul_f64 v[92:93], v[92:93], s[16:17]
	v_fma_f64 v[86:87], v[86:87], s[14:15], v[114:115]
	v_add_f64 v[194:195], v[208:209], v[206:207]
	v_add_f64 v[0:1], v[106:107], v[0:1]
	v_fma_f64 v[140:141], v[68:69], s[6:7], -v[140:141]
	v_add_f64 v[206:207], v[218:219], v[214:215]
	v_fma_f64 v[214:215], v[70:71], s[8:9], v[138:139]
	v_fma_f64 v[138:139], v[70:71], s[46:47], v[138:139]
	;; [unrolled: 1-line block ×4, first 2 shown]
	v_add_f64 v[126:127], v[126:127], v[136:137]
	v_add_f64 v[180:181], v[226:227], v[180:181]
	;; [unrolled: 1-line block ×5, first 2 shown]
	v_fma_f64 v[112:113], v[70:71], s[34:35], v[112:113]
	v_add_f64 v[146:147], v[146:147], v[154:155]
	v_fma_f64 v[110:111], v[68:69], s[28:29], v[110:111]
	v_add_f64 v[168:169], v[188:189], v[168:169]
	v_fma_f64 v[188:189], v[48:49], s[28:29], -v[230:231]
	v_fma_f64 v[70:71], v[70:71], s[56:57], v[104:105]
	v_fma_f64 v[104:105], v[50:51], s[50:51], v[96:97]
	v_mul_f64 v[76:77], v[76:77], s[24:25]
	v_add_f64 v[88:89], v[88:89], v[108:109]
	v_fma_f64 v[108:109], v[48:49], s[14:15], v[92:93]
	v_fma_f64 v[68:69], v[68:69], s[20:21], v[102:103]
	v_add_f64 v[0:1], v[86:87], v[0:1]
	v_mul_f64 v[66:67], v[66:67], s[44:45]
	v_fma_f64 v[96:97], v[50:51], s[16:17], v[96:97]
	v_fma_f64 v[92:93], v[48:49], s[14:15], -v[92:93]
	v_add_f64 v[130:131], v[130:131], v[144:145]
	v_fma_f64 v[118:119], v[50:51], s[12:13], v[118:119]
	v_add_f64 v[124:125], v[124:125], v[142:143]
	v_fma_f64 v[116:117], v[48:49], s[10:11], v[116:117]
	v_fma_f64 v[220:221], v[50:51], s[48:49], v[220:221]
	v_add_f64 v[138:139], v[138:139], v[148:149]
	v_add_f64 v[174:175], v[216:217], v[186:187]
	;; [unrolled: 1-line block ×6, first 2 shown]
	v_fma_f64 v[90:91], v[50:51], s[44:45], v[90:91]
	v_add_f64 v[110:111], v[110:111], v[122:123]
	v_fma_f64 v[94:95], v[48:49], s[24:25], v[94:95]
	v_mul_f64 v[222:223], v[44:45], s[8:9]
	v_add_f64 v[168:169], v[188:189], v[168:169]
	v_fma_f64 v[154:155], v[30:31], s[20:21], -v[224:225]
	v_fma_f64 v[122:123], v[34:35], s[26:27], v[76:77]
	v_fma_f64 v[50:51], v[50:51], s[42:43], v[84:85]
	v_add_f64 v[70:71], v[70:71], v[88:89]
	v_fma_f64 v[48:49], v[48:49], s[36:37], v[82:83]
	v_add_f64 v[0:1], v[68:69], v[0:1]
	v_fma_f64 v[68:69], v[30:31], s[24:25], v[66:67]
	v_fma_f64 v[76:77], v[34:35], s[44:45], v[76:77]
	v_fma_f64 v[98:99], v[30:31], s[6:7], v[98:99]
	v_mul_f64 v[212:213], v[56:57], s[6:7]
	v_mul_f64 v[56:57], v[56:57], s[22:23]
	v_add_f64 v[84:85], v[96:97], v[138:139]
	v_add_f64 v[108:109], v[108:109], v[174:175]
	v_fma_f64 v[96:97], v[34:35], s[46:47], v[100:101]
	v_add_f64 v[88:89], v[92:93], v[140:141]
	v_add_f64 v[92:93], v[118:119], v[130:131]
	;; [unrolled: 1-line block ×3, first 2 shown]
	v_mul_f64 v[44:45], v[44:45], s[38:39]
	v_fma_f64 v[66:67], v[30:31], s[24:25], -v[66:67]
	v_add_f64 v[160:161], v[220:221], v[160:161]
	v_add_f64 v[104:105], v[104:105], v[172:173]
	;; [unrolled: 1-line block ×3, first 2 shown]
	v_fma_f64 v[74:75], v[34:35], s[40:41], v[74:75]
	v_add_f64 v[94:95], v[94:95], v[110:111]
	v_fma_f64 v[72:73], v[30:31], s[36:37], v[72:73]
	v_mul_f64 v[106:107], v[26:27], s[30:31]
	v_add_f64 v[82:83], v[154:155], v[168:169]
	v_fma_f64 v[110:111], v[20:21], s[6:7], -v[222:223]
	v_fma_f64 v[34:35], v[34:35], s[38:39], v[64:65]
	v_add_f64 v[50:51], v[50:51], v[70:71]
	v_add_f64 v[0:1], v[48:49], v[0:1]
	v_fma_f64 v[70:71], v[22:23], s[56:57], v[80:81]
	v_fma_f64 v[78:79], v[20:21], s[20:21], v[78:79]
	v_add_f64 v[64:65], v[76:77], v[84:85]
	v_add_f64 v[48:49], v[68:69], v[108:109]
	v_mul_f64 v[170:171], v[24:25], s[14:15]
	v_mul_f64 v[166:167], v[26:27], s[50:51]
	v_add_f64 v[68:69], v[96:97], v[92:93]
	v_add_f64 v[76:77], v[98:99], v[100:101]
	v_mul_f64 v[114:115], v[24:25], s[22:23]
	v_fma_f64 v[112:113], v[22:23], s[30:31], v[56:57]
	v_fma_f64 v[30:31], v[30:31], s[22:23], v[62:63]
	;; [unrolled: 1-line block ×3, first 2 shown]
	v_mul_f64 v[24:25], v[24:25], s[10:11]
	v_mul_f64 v[26:27], v[26:27], s[54:55]
	v_fma_f64 v[56:57], v[22:23], s[38:39], v[56:57]
	v_add_f64 v[66:67], v[66:67], v[88:89]
	v_fma_f64 v[44:45], v[20:21], s[22:23], -v[44:45]
	v_add_f64 v[128:129], v[210:211], v[160:161]
	v_fma_f64 v[152:153], v[22:23], s[8:9], v[212:213]
	v_add_f64 v[158:159], v[204:205], v[158:159]
	v_add_f64 v[104:105], v[122:123], v[104:105]
	;; [unrolled: 1-line block ×3, first 2 shown]
	v_fma_f64 v[60:61], v[22:23], s[16:17], v[60:61]
	v_add_f64 v[72:73], v[72:73], v[94:95]
	v_fma_f64 v[58:59], v[20:21], s[14:15], v[58:59]
	v_fma_f64 v[208:209], v[20:21], s[6:7], v[222:223]
	v_add_f64 v[82:83], v[110:111], v[82:83]
	v_fma_f64 v[20:21], v[20:21], s[24:25], v[42:43]
	v_fma_f64 v[42:43], v[18:19], s[22:23], -v[106:107]
	v_add_f64 v[68:69], v[70:71], v[68:69]
	v_add_f64 v[70:71], v[78:79], v[76:77]
	v_fma_f64 v[54:55], v[18:19], s[24:25], v[54:55]
	v_add_f64 v[0:1], v[30:31], v[0:1]
	v_fma_f64 v[30:31], v[16:17], s[30:31], v[114:115]
	v_fma_f64 v[204:205], v[22:23], s[46:47], v[212:213]
	;; [unrolled: 1-line block ×3, first 2 shown]
	v_add_f64 v[56:57], v[56:57], v[64:65]
	v_fma_f64 v[64:65], v[16:17], s[54:55], v[24:25]
	v_add_f64 v[44:45], v[44:45], v[66:67]
	v_fma_f64 v[66:67], v[18:19], s[10:11], -v[26:27]
	v_add_f64 v[80:81], v[152:153], v[128:129]
	v_add_f64 v[132:133], v[190:191], v[158:159]
	v_fma_f64 v[150:151], v[18:19], s[14:15], -v[166:167]
	v_fma_f64 v[22:23], v[22:23], s[26:27], v[46:47]
	v_add_f64 v[34:35], v[34:35], v[50:51]
	v_fma_f64 v[160:161], v[16:17], s[40:41], v[198:199]
	v_fma_f64 v[120:121], v[18:19], s[36:37], -v[196:197]
	v_add_f64 v[46:47], v[112:113], v[104:105]
	v_fma_f64 v[50:51], v[16:17], s[12:13], v[24:25]
	v_add_f64 v[60:61], v[60:61], v[74:75]
	v_add_f64 v[58:59], v[58:59], v[72:73]
	v_fma_f64 v[74:75], v[18:19], s[6:7], v[40:41]
	v_add_f64 v[48:49], v[62:63], v[48:49]
	v_fma_f64 v[62:63], v[18:19], s[10:11], v[26:27]
	v_fma_f64 v[72:73], v[16:17], s[8:9], v[38:39]
	v_add_nc_u32_e32 v32, s2, v32
	v_fma_f64 v[84:85], v[18:19], s[28:29], v[28:29]
	v_add_f64 v[28:29], v[42:43], v[82:83]
	v_add_f64 v[42:43], v[54:55], v[70:71]
	;; [unrolled: 1-line block ×3, first 2 shown]
	v_lshlrev_b64 v[54:55], 4, v[32:33]
	v_add_nc_u32_e32 v32, s2, v32
	v_add_f64 v[38:39], v[66:67], v[44:45]
	v_add_f64 v[156:157], v[202:203], v[192:193]
	v_fma_f64 v[136:137], v[16:17], s[16:17], v[170:171]
	v_fma_f64 v[134:135], v[18:19], s[14:15], v[166:167]
	v_add_f64 v[30:31], v[30:31], v[80:81]
	v_add_f64 v[78:79], v[22:23], v[34:35]
	;; [unrolled: 1-line block ×5, first 2 shown]
	v_lshlrev_b64 v[56:57], 4, v[32:33]
	v_add_nc_u32_e32 v32, s2, v32
	v_add_f64 v[2:3], v[160:161], v[182:183]
	v_add_f64 v[0:1], v[120:121], v[178:179]
	v_fma_f64 v[76:77], v[16:17], s[34:35], v[36:37]
	v_add_f64 v[36:37], v[50:51], v[46:47]
	v_add_f64 v[46:47], v[74:75], v[58:59]
	v_lshlrev_b64 v[58:59], 4, v[32:33]
	v_add_nc_u32_e32 v32, s2, v32
	v_add_co_u32 v54, vcc_lo, v200, v54
	v_add_co_ci_u32_e32 v55, vcc_lo, v201, v55, vcc_lo
	v_add_f64 v[34:35], v[62:63], v[48:49]
	v_add_f64 v[48:49], v[72:73], v[60:61]
	v_add_co_u32 v56, vcc_lo, v200, v56
	v_lshlrev_b64 v[60:61], 4, v[32:33]
	v_add_nc_u32_e32 v32, s2, v32
	v_add_co_ci_u32_e32 v57, vcc_lo, v201, v57, vcc_lo
	v_add_co_u32 v58, vcc_lo, v200, v58
	v_add_co_ci_u32_e32 v59, vcc_lo, v201, v59, vcc_lo
	v_lshlrev_b64 v[62:63], 4, v[32:33]
	v_add_nc_u32_e32 v32, s2, v32
	v_add_co_u32 v60, vcc_lo, v200, v60
	v_add_co_ci_u32_e32 v61, vcc_lo, v201, v61, vcc_lo
	v_add_f64 v[158:159], v[204:205], v[194:195]
	v_add_f64 v[164:165], v[208:209], v[206:207]
	v_fma_f64 v[102:103], v[16:17], s[38:39], v[114:115]
	v_fma_f64 v[86:87], v[18:19], s[22:23], v[106:107]
	global_store_dwordx4 v[54:55], v[38:41], off
	global_store_dwordx4 v[56:57], v[28:31], off
	;; [unrolled: 1-line block ×4, first 2 shown]
	v_lshlrev_b64 v[0:1], 4, v[32:33]
	v_add_nc_u32_e32 v32, s2, v32
	v_fma_f64 v[52:53], v[16:17], s[26:27], v[52:53]
	v_add_f64 v[18:19], v[136:137], v[184:185]
	v_add_f64 v[16:17], v[134:135], v[156:157]
	v_add_co_u32 v2, vcc_lo, v200, v62
	v_lshlrev_b64 v[20:21], 4, v[32:33]
	v_add_nc_u32_e32 v32, s2, v32
	v_add_co_ci_u32_e32 v3, vcc_lo, v201, v63, vcc_lo
	v_add_co_u32 v0, vcc_lo, v200, v0
	v_lshlrev_b64 v[22:23], 4, v[32:33]
	v_add_nc_u32_e32 v32, s2, v32
	v_add_co_ci_u32_e32 v1, vcc_lo, v201, v1, vcc_lo
	v_add_co_u32 v20, vcc_lo, v200, v20
	v_add_co_ci_u32_e32 v21, vcc_lo, v201, v21, vcc_lo
	v_lshlrev_b64 v[28:29], 4, v[32:33]
	v_add_nc_u32_e32 v32, s2, v32
	v_add_co_u32 v22, vcc_lo, v200, v22
	v_add_co_ci_u32_e32 v23, vcc_lo, v201, v23, vcc_lo
	global_store_dwordx4 v[2:3], v[8:11], off
	global_store_dwordx4 v[0:1], v[4:7], off
	;; [unrolled: 1-line block ×4, first 2 shown]
	v_lshlrev_b64 v[0:1], 4, v[32:33]
	v_add_nc_u32_e32 v32, s2, v32
	v_add_f64 v[26:27], v[102:103], v[158:159]
	v_add_f64 v[24:25], v[86:87], v[164:165]
	;; [unrolled: 1-line block ×4, first 2 shown]
	v_lshlrev_b64 v[4:5], 4, v[32:33]
	v_add_nc_u32_e32 v32, s2, v32
	v_add_f64 v[50:51], v[84:85], v[88:89]
	v_add_co_u32 v2, vcc_lo, v200, v28
	v_add_co_ci_u32_e32 v3, vcc_lo, v201, v29, vcc_lo
	v_lshlrev_b64 v[6:7], 4, v[32:33]
	v_add_nc_u32_e32 v32, s2, v32
	v_add_co_u32 v0, vcc_lo, v200, v0
	v_add_co_ci_u32_e32 v1, vcc_lo, v201, v1, vcc_lo
	v_add_co_u32 v4, vcc_lo, v200, v4
	v_lshlrev_b64 v[8:9], 4, v[32:33]
	v_add_co_ci_u32_e32 v5, vcc_lo, v201, v5, vcc_lo
	v_add_co_u32 v6, vcc_lo, v200, v6
	v_add_co_ci_u32_e32 v7, vcc_lo, v201, v7, vcc_lo
	v_add_co_u32 v8, vcc_lo, v200, v8
	v_add_co_ci_u32_e32 v9, vcc_lo, v201, v9, vcc_lo
	global_store_dwordx4 v[2:3], v[24:27], off
	global_store_dwordx4 v[0:1], v[34:37], off
	;; [unrolled: 1-line block ×5, first 2 shown]
.LBB0_17:
	s_endpgm
	.section	.rodata,"a",@progbits
	.p2align	6, 0x0
	.amdhsa_kernel fft_rtc_fwd_len17_factors_17_wgs_120_tpt_1_dp_op_CI_CI_sbrc_unaligned_dirReg
		.amdhsa_group_segment_fixed_size 0
		.amdhsa_private_segment_fixed_size 0
		.amdhsa_kernarg_size 104
		.amdhsa_user_sgpr_count 6
		.amdhsa_user_sgpr_private_segment_buffer 1
		.amdhsa_user_sgpr_dispatch_ptr 0
		.amdhsa_user_sgpr_queue_ptr 0
		.amdhsa_user_sgpr_kernarg_segment_ptr 1
		.amdhsa_user_sgpr_dispatch_id 0
		.amdhsa_user_sgpr_flat_scratch_init 0
		.amdhsa_user_sgpr_private_segment_size 0
		.amdhsa_wavefront_size32 1
		.amdhsa_uses_dynamic_stack 0
		.amdhsa_system_sgpr_private_segment_wavefront_offset 0
		.amdhsa_system_sgpr_workgroup_id_x 1
		.amdhsa_system_sgpr_workgroup_id_y 0
		.amdhsa_system_sgpr_workgroup_id_z 0
		.amdhsa_system_sgpr_workgroup_info 0
		.amdhsa_system_vgpr_workitem_id 0
		.amdhsa_next_free_vgpr 256
		.amdhsa_next_free_sgpr 60
		.amdhsa_reserve_vcc 1
		.amdhsa_reserve_flat_scratch 0
		.amdhsa_float_round_mode_32 0
		.amdhsa_float_round_mode_16_64 0
		.amdhsa_float_denorm_mode_32 3
		.amdhsa_float_denorm_mode_16_64 3
		.amdhsa_dx10_clamp 1
		.amdhsa_ieee_mode 1
		.amdhsa_fp16_overflow 0
		.amdhsa_workgroup_processor_mode 1
		.amdhsa_memory_ordered 1
		.amdhsa_forward_progress 0
		.amdhsa_shared_vgpr_count 0
		.amdhsa_exception_fp_ieee_invalid_op 0
		.amdhsa_exception_fp_denorm_src 0
		.amdhsa_exception_fp_ieee_div_zero 0
		.amdhsa_exception_fp_ieee_overflow 0
		.amdhsa_exception_fp_ieee_underflow 0
		.amdhsa_exception_fp_ieee_inexact 0
		.amdhsa_exception_int_div_zero 0
	.end_amdhsa_kernel
	.text
.Lfunc_end0:
	.size	fft_rtc_fwd_len17_factors_17_wgs_120_tpt_1_dp_op_CI_CI_sbrc_unaligned_dirReg, .Lfunc_end0-fft_rtc_fwd_len17_factors_17_wgs_120_tpt_1_dp_op_CI_CI_sbrc_unaligned_dirReg
                                        ; -- End function
	.section	.AMDGPU.csdata,"",@progbits
; Kernel info:
; codeLenInByte = 11176
; NumSgprs: 62
; NumVgprs: 256
; ScratchSize: 0
; MemoryBound: 0
; FloatMode: 240
; IeeeMode: 1
; LDSByteSize: 0 bytes/workgroup (compile time only)
; SGPRBlocks: 7
; VGPRBlocks: 31
; NumSGPRsForWavesPerEU: 62
; NumVGPRsForWavesPerEU: 256
; Occupancy: 4
; WaveLimiterHint : 1
; COMPUTE_PGM_RSRC2:SCRATCH_EN: 0
; COMPUTE_PGM_RSRC2:USER_SGPR: 6
; COMPUTE_PGM_RSRC2:TRAP_HANDLER: 0
; COMPUTE_PGM_RSRC2:TGID_X_EN: 1
; COMPUTE_PGM_RSRC2:TGID_Y_EN: 0
; COMPUTE_PGM_RSRC2:TGID_Z_EN: 0
; COMPUTE_PGM_RSRC2:TIDIG_COMP_CNT: 0
	.text
	.p2alignl 6, 3214868480
	.fill 48, 4, 3214868480
	.type	__hip_cuid_70495e4fb0b532b7,@object ; @__hip_cuid_70495e4fb0b532b7
	.section	.bss,"aw",@nobits
	.globl	__hip_cuid_70495e4fb0b532b7
__hip_cuid_70495e4fb0b532b7:
	.byte	0                               ; 0x0
	.size	__hip_cuid_70495e4fb0b532b7, 1

	.ident	"AMD clang version 19.0.0git (https://github.com/RadeonOpenCompute/llvm-project roc-6.4.0 25133 c7fe45cf4b819c5991fe208aaa96edf142730f1d)"
	.section	".note.GNU-stack","",@progbits
	.addrsig
	.addrsig_sym __hip_cuid_70495e4fb0b532b7
	.amdgpu_metadata
---
amdhsa.kernels:
  - .args:
      - .actual_access:  read_only
        .address_space:  global
        .offset:         0
        .size:           8
        .value_kind:     global_buffer
      - .offset:         8
        .size:           8
        .value_kind:     by_value
      - .actual_access:  read_only
        .address_space:  global
        .offset:         16
        .size:           8
        .value_kind:     global_buffer
      - .actual_access:  read_only
        .address_space:  global
        .offset:         24
        .size:           8
        .value_kind:     global_buffer
      - .actual_access:  read_only
        .address_space:  global
        .offset:         32
        .size:           8
        .value_kind:     global_buffer
      - .offset:         40
        .size:           8
        .value_kind:     by_value
      - .actual_access:  read_only
        .address_space:  global
        .offset:         48
        .size:           8
        .value_kind:     global_buffer
      - .actual_access:  read_only
        .address_space:  global
        .offset:         56
        .size:           8
        .value_kind:     global_buffer
      - .offset:         64
        .size:           4
        .value_kind:     by_value
      - .actual_access:  read_only
        .address_space:  global
        .offset:         72
        .size:           8
        .value_kind:     global_buffer
      - .actual_access:  read_only
        .address_space:  global
        .offset:         80
        .size:           8
        .value_kind:     global_buffer
      - .actual_access:  read_only
        .address_space:  global
        .offset:         88
        .size:           8
        .value_kind:     global_buffer
      - .actual_access:  write_only
        .address_space:  global
        .offset:         96
        .size:           8
        .value_kind:     global_buffer
    .group_segment_fixed_size: 0
    .kernarg_segment_align: 8
    .kernarg_segment_size: 104
    .language:       OpenCL C
    .language_version:
      - 2
      - 0
    .max_flat_workgroup_size: 120
    .name:           fft_rtc_fwd_len17_factors_17_wgs_120_tpt_1_dp_op_CI_CI_sbrc_unaligned_dirReg
    .private_segment_fixed_size: 0
    .sgpr_count:     62
    .sgpr_spill_count: 0
    .symbol:         fft_rtc_fwd_len17_factors_17_wgs_120_tpt_1_dp_op_CI_CI_sbrc_unaligned_dirReg.kd
    .uniform_work_group_size: 1
    .uses_dynamic_stack: false
    .vgpr_count:     256
    .vgpr_spill_count: 0
    .wavefront_size: 32
    .workgroup_processor_mode: 1
amdhsa.target:   amdgcn-amd-amdhsa--gfx1030
amdhsa.version:
  - 1
  - 2
...

	.end_amdgpu_metadata
